;; amdgpu-corpus repo=ROCm/rocFFT kind=compiled arch=gfx1030 opt=O3
	.text
	.amdgcn_target "amdgcn-amd-amdhsa--gfx1030"
	.amdhsa_code_object_version 6
	.protected	fft_rtc_back_len884_factors_13_4_17_wgs_204_tpt_68_halfLds_dp_ip_CI_sbrr_dirReg ; -- Begin function fft_rtc_back_len884_factors_13_4_17_wgs_204_tpt_68_halfLds_dp_ip_CI_sbrr_dirReg
	.globl	fft_rtc_back_len884_factors_13_4_17_wgs_204_tpt_68_halfLds_dp_ip_CI_sbrr_dirReg
	.p2align	8
	.type	fft_rtc_back_len884_factors_13_4_17_wgs_204_tpt_68_halfLds_dp_ip_CI_sbrr_dirReg,@function
fft_rtc_back_len884_factors_13_4_17_wgs_204_tpt_68_halfLds_dp_ip_CI_sbrr_dirReg: ; @fft_rtc_back_len884_factors_13_4_17_wgs_204_tpt_68_halfLds_dp_ip_CI_sbrr_dirReg
; %bb.0:
	s_clause 0x1
	s_load_dwordx2 s[14:15], s[4:5], 0x18
	s_load_dwordx4 s[8:11], s[4:5], 0x0
	v_mul_u32_u24_e32 v1, 0x3c4, v0
	s_mov_b64 s[58:59], s[2:3]
	s_mov_b64 s[56:57], s[0:1]
	v_mov_b32_e32 v3, 0
	s_add_u32 s56, s56, s7
	v_lshrrev_b32_e32 v1, 16, v1
	s_addc_u32 s57, s57, 0
	s_load_dwordx2 s[12:13], s[4:5], 0x50
	s_waitcnt lgkmcnt(0)
	s_load_dwordx2 s[2:3], s[14:15], 0x0
	v_mad_u64_u32 v[52:53], null, s6, 3, v[1:2]
	v_mov_b32_e32 v53, v3
	v_cmp_lt_u64_e64 s0, s[10:11], 2
	v_mov_b32_e32 v1, 0
	v_mov_b32_e32 v2, 0
	;; [unrolled: 1-line block ×4, first 2 shown]
	s_and_b32 vcc_lo, exec_lo, s0
	s_cbranch_vccnz .LBB0_8
; %bb.1:
	s_load_dwordx2 s[0:1], s[4:5], 0x10
	v_mov_b32_e32 v1, 0
	v_mov_b32_e32 v5, v52
	s_add_u32 s6, s14, 8
	v_mov_b32_e32 v2, 0
	v_mov_b32_e32 v6, v53
	s_addc_u32 s7, s15, 0
	s_mov_b64 s[18:19], 1
	s_waitcnt lgkmcnt(0)
	s_add_u32 s16, s0, 8
	s_addc_u32 s17, s1, 0
.LBB0_2:                                ; =>This Inner Loop Header: Depth=1
	s_load_dwordx2 s[20:21], s[16:17], 0x0
                                        ; implicit-def: $vgpr7_vgpr8
	s_mov_b32 s0, exec_lo
	s_waitcnt lgkmcnt(0)
	v_or_b32_e32 v4, s21, v6
	v_cmpx_ne_u64_e32 0, v[3:4]
	s_xor_b32 s1, exec_lo, s0
	s_cbranch_execz .LBB0_4
; %bb.3:                                ;   in Loop: Header=BB0_2 Depth=1
	v_cvt_f32_u32_e32 v4, s20
	v_cvt_f32_u32_e32 v7, s21
	s_sub_u32 s0, 0, s20
	s_subb_u32 s22, 0, s21
	v_fmac_f32_e32 v4, 0x4f800000, v7
	v_rcp_f32_e32 v4, v4
	v_mul_f32_e32 v4, 0x5f7ffffc, v4
	v_mul_f32_e32 v7, 0x2f800000, v4
	v_trunc_f32_e32 v7, v7
	v_fmac_f32_e32 v4, 0xcf800000, v7
	v_cvt_u32_f32_e32 v7, v7
	v_cvt_u32_f32_e32 v4, v4
	v_mul_lo_u32 v8, s0, v7
	v_mul_hi_u32 v9, s0, v4
	v_mul_lo_u32 v10, s22, v4
	v_add_nc_u32_e32 v8, v9, v8
	v_mul_lo_u32 v9, s0, v4
	v_add_nc_u32_e32 v8, v8, v10
	v_mul_hi_u32 v10, v4, v9
	v_mul_lo_u32 v11, v4, v8
	v_mul_hi_u32 v12, v4, v8
	v_mul_hi_u32 v13, v7, v9
	v_mul_lo_u32 v9, v7, v9
	v_mul_hi_u32 v14, v7, v8
	v_mul_lo_u32 v8, v7, v8
	v_add_co_u32 v10, vcc_lo, v10, v11
	v_add_co_ci_u32_e32 v11, vcc_lo, 0, v12, vcc_lo
	v_add_co_u32 v9, vcc_lo, v10, v9
	v_add_co_ci_u32_e32 v9, vcc_lo, v11, v13, vcc_lo
	v_add_co_ci_u32_e32 v10, vcc_lo, 0, v14, vcc_lo
	v_add_co_u32 v8, vcc_lo, v9, v8
	v_add_co_ci_u32_e32 v9, vcc_lo, 0, v10, vcc_lo
	v_add_co_u32 v4, vcc_lo, v4, v8
	v_add_co_ci_u32_e32 v7, vcc_lo, v7, v9, vcc_lo
	v_mul_hi_u32 v8, s0, v4
	v_mul_lo_u32 v10, s22, v4
	v_mul_lo_u32 v9, s0, v7
	v_add_nc_u32_e32 v8, v8, v9
	v_mul_lo_u32 v9, s0, v4
	v_add_nc_u32_e32 v8, v8, v10
	v_mul_hi_u32 v10, v4, v9
	v_mul_lo_u32 v11, v4, v8
	v_mul_hi_u32 v12, v4, v8
	v_mul_hi_u32 v13, v7, v9
	v_mul_lo_u32 v9, v7, v9
	v_mul_hi_u32 v14, v7, v8
	v_mul_lo_u32 v8, v7, v8
	v_add_co_u32 v10, vcc_lo, v10, v11
	v_add_co_ci_u32_e32 v11, vcc_lo, 0, v12, vcc_lo
	v_add_co_u32 v9, vcc_lo, v10, v9
	v_add_co_ci_u32_e32 v9, vcc_lo, v11, v13, vcc_lo
	v_add_co_ci_u32_e32 v10, vcc_lo, 0, v14, vcc_lo
	v_add_co_u32 v8, vcc_lo, v9, v8
	v_add_co_ci_u32_e32 v9, vcc_lo, 0, v10, vcc_lo
	v_add_co_u32 v4, vcc_lo, v4, v8
	v_add_co_ci_u32_e32 v11, vcc_lo, v7, v9, vcc_lo
	v_mul_hi_u32 v13, v5, v4
	v_mad_u64_u32 v[9:10], null, v6, v4, 0
	v_mad_u64_u32 v[7:8], null, v5, v11, 0
	;; [unrolled: 1-line block ×3, first 2 shown]
	v_add_co_u32 v4, vcc_lo, v13, v7
	v_add_co_ci_u32_e32 v7, vcc_lo, 0, v8, vcc_lo
	v_add_co_u32 v4, vcc_lo, v4, v9
	v_add_co_ci_u32_e32 v4, vcc_lo, v7, v10, vcc_lo
	v_add_co_ci_u32_e32 v7, vcc_lo, 0, v12, vcc_lo
	v_add_co_u32 v4, vcc_lo, v4, v11
	v_add_co_ci_u32_e32 v9, vcc_lo, 0, v7, vcc_lo
	v_mul_lo_u32 v10, s21, v4
	v_mad_u64_u32 v[7:8], null, s20, v4, 0
	v_mul_lo_u32 v11, s20, v9
	v_sub_co_u32 v7, vcc_lo, v5, v7
	v_add3_u32 v8, v8, v11, v10
	v_sub_nc_u32_e32 v10, v6, v8
	v_subrev_co_ci_u32_e64 v10, s0, s21, v10, vcc_lo
	v_add_co_u32 v11, s0, v4, 2
	v_add_co_ci_u32_e64 v12, s0, 0, v9, s0
	v_sub_co_u32 v13, s0, v7, s20
	v_sub_co_ci_u32_e32 v8, vcc_lo, v6, v8, vcc_lo
	v_subrev_co_ci_u32_e64 v10, s0, 0, v10, s0
	v_cmp_le_u32_e32 vcc_lo, s20, v13
	v_cmp_eq_u32_e64 s0, s21, v8
	v_cndmask_b32_e64 v13, 0, -1, vcc_lo
	v_cmp_le_u32_e32 vcc_lo, s21, v10
	v_cndmask_b32_e64 v14, 0, -1, vcc_lo
	v_cmp_le_u32_e32 vcc_lo, s20, v7
	;; [unrolled: 2-line block ×3, first 2 shown]
	v_cndmask_b32_e64 v15, 0, -1, vcc_lo
	v_cmp_eq_u32_e32 vcc_lo, s21, v10
	v_cndmask_b32_e64 v7, v15, v7, s0
	v_cndmask_b32_e32 v10, v14, v13, vcc_lo
	v_add_co_u32 v13, vcc_lo, v4, 1
	v_add_co_ci_u32_e32 v14, vcc_lo, 0, v9, vcc_lo
	v_cmp_ne_u32_e32 vcc_lo, 0, v10
	v_cndmask_b32_e32 v8, v14, v12, vcc_lo
	v_cndmask_b32_e32 v10, v13, v11, vcc_lo
	v_cmp_ne_u32_e32 vcc_lo, 0, v7
	v_cndmask_b32_e32 v8, v9, v8, vcc_lo
	v_cndmask_b32_e32 v7, v4, v10, vcc_lo
.LBB0_4:                                ;   in Loop: Header=BB0_2 Depth=1
	s_andn2_saveexec_b32 s0, s1
	s_cbranch_execz .LBB0_6
; %bb.5:                                ;   in Loop: Header=BB0_2 Depth=1
	v_cvt_f32_u32_e32 v4, s20
	s_sub_i32 s1, 0, s20
	v_rcp_iflag_f32_e32 v4, v4
	v_mul_f32_e32 v4, 0x4f7ffffe, v4
	v_cvt_u32_f32_e32 v4, v4
	v_mul_lo_u32 v7, s1, v4
	v_mul_hi_u32 v7, v4, v7
	v_add_nc_u32_e32 v4, v4, v7
	v_mul_hi_u32 v4, v5, v4
	v_mul_lo_u32 v7, v4, s20
	v_add_nc_u32_e32 v8, 1, v4
	v_sub_nc_u32_e32 v7, v5, v7
	v_subrev_nc_u32_e32 v9, s20, v7
	v_cmp_le_u32_e32 vcc_lo, s20, v7
	v_cndmask_b32_e32 v7, v7, v9, vcc_lo
	v_cndmask_b32_e32 v4, v4, v8, vcc_lo
	v_cmp_le_u32_e32 vcc_lo, s20, v7
	v_add_nc_u32_e32 v8, 1, v4
	v_cndmask_b32_e32 v7, v4, v8, vcc_lo
	v_mov_b32_e32 v8, v3
.LBB0_6:                                ;   in Loop: Header=BB0_2 Depth=1
	s_or_b32 exec_lo, exec_lo, s0
	s_load_dwordx2 s[0:1], s[6:7], 0x0
	v_mul_lo_u32 v4, v8, s20
	v_mul_lo_u32 v11, v7, s21
	v_mad_u64_u32 v[9:10], null, v7, s20, 0
	s_add_u32 s18, s18, 1
	s_addc_u32 s19, s19, 0
	s_add_u32 s6, s6, 8
	s_addc_u32 s7, s7, 0
	;; [unrolled: 2-line block ×3, first 2 shown]
	v_add3_u32 v4, v10, v11, v4
	v_sub_co_u32 v5, vcc_lo, v5, v9
	v_sub_co_ci_u32_e32 v4, vcc_lo, v6, v4, vcc_lo
	s_waitcnt lgkmcnt(0)
	v_mul_lo_u32 v6, s1, v5
	v_mul_lo_u32 v4, s0, v4
	v_mad_u64_u32 v[1:2], null, s0, v5, v[1:2]
	v_cmp_ge_u64_e64 s0, s[18:19], s[10:11]
	s_and_b32 vcc_lo, exec_lo, s0
	v_add3_u32 v2, v6, v2, v4
	s_cbranch_vccnz .LBB0_8
; %bb.7:                                ;   in Loop: Header=BB0_2 Depth=1
	v_mov_b32_e32 v5, v7
	v_mov_b32_e32 v6, v8
	s_branch .LBB0_2
.LBB0_8:
	s_lshl_b64 s[0:1], s[10:11], 3
	v_mul_hi_u32 v3, 0x3c3c3c4, v0
	s_add_u32 s0, s14, s0
	s_addc_u32 s1, s15, s1
	s_load_dwordx2 s[4:5], s[4:5], 0x20
	s_load_dwordx2 s[0:1], s[0:1], 0x0
	v_mul_u32_u24_e32 v3, 0x44, v3
	v_sub_nc_u32_e32 v146, v0, v3
	v_add_nc_u32_e32 v72, 0x44, v146
	v_add_nc_u32_e32 v73, 0x88, v146
	;; [unrolled: 1-line block ×3, first 2 shown]
	s_waitcnt lgkmcnt(0)
	v_cmp_gt_u64_e32 vcc_lo, s[4:5], v[7:8]
	v_mul_lo_u32 v3, s0, v8
	v_mul_lo_u32 v4, s1, v7
	v_mad_u64_u32 v[0:1], null, s0, v7, v[1:2]
	v_cmp_le_u64_e64 s0, s[4:5], v[7:8]
	v_add3_u32 v1, v4, v1, v3
	s_and_saveexec_b32 s1, s0
	s_xor_b32 s0, exec_lo, s1
; %bb.9:
	v_add_nc_u32_e32 v72, 0x44, v146
	v_add_nc_u32_e32 v73, 0x88, v146
	;; [unrolled: 1-line block ×3, first 2 shown]
; %bb.10:
	s_or_saveexec_b32 s1, s0
	v_lshlrev_b64 v[185:186], 4, v[0:1]
                                        ; implicit-def: $vgpr46_vgpr47
                                        ; implicit-def: $vgpr50_vgpr51
                                        ; implicit-def: $vgpr14_vgpr15
                                        ; implicit-def: $vgpr34_vgpr35
                                        ; implicit-def: $vgpr22_vgpr23
                                        ; implicit-def: $vgpr18_vgpr19
                                        ; implicit-def: $vgpr6_vgpr7
                                        ; implicit-def: $vgpr10_vgpr11
                                        ; implicit-def: $vgpr26_vgpr27
                                        ; implicit-def: $vgpr30_vgpr31
                                        ; implicit-def: $vgpr42_vgpr43
                                        ; implicit-def: $vgpr38_vgpr39
                                        ; implicit-def: $vgpr2_vgpr3
	s_xor_b32 exec_lo, exec_lo, s1
	s_cbranch_execz .LBB0_12
; %bb.11:
	v_mad_u64_u32 v[0:1], null, s2, v146, 0
	v_mad_u64_u32 v[2:3], null, s2, v72, 0
	;; [unrolled: 1-line block ×3, first 2 shown]
	v_add_co_u32 v25, s0, s12, v185
	v_add_nc_u32_e32 v14, 0x110, v146
	v_add_co_ci_u32_e64 v26, s0, s13, v186, s0
	v_mad_u64_u32 v[4:5], null, s3, v146, v[1:2]
	v_mov_b32_e32 v1, v3
	v_mad_u64_u32 v[5:6], null, s2, v73, 0
	v_add_nc_u32_e32 v16, 0x154, v146
	v_add_nc_u32_e32 v18, 0x198, v146
	v_mad_u64_u32 v[9:10], null, s3, v72, v[1:2]
	v_mov_b32_e32 v1, v4
	v_add_nc_u32_e32 v19, 0x1dc, v146
	v_mov_b32_e32 v4, v6
	v_mov_b32_e32 v6, v8
	v_add_nc_u32_e32 v22, 0x264, v146
	v_lshlrev_b64 v[0:1], 4, v[0:1]
	v_mov_b32_e32 v3, v9
	v_mad_u64_u32 v[8:9], null, s3, v73, v[4:5]
	v_mad_u64_u32 v[11:12], null, s3, v104, v[6:7]
	v_lshlrev_b64 v[2:3], 4, v[2:3]
	v_add_co_u32 v0, s0, v25, v0
	v_mad_u64_u32 v[12:13], null, s2, v14, 0
	v_add_co_ci_u32_e64 v1, s0, v26, v1, s0
	v_add_co_u32 v9, s0, v25, v2
	v_mov_b32_e32 v6, v8
	v_mov_b32_e32 v8, v11
	v_add_co_ci_u32_e64 v10, s0, v26, v3, s0
	s_clause 0x1
	global_load_dwordx4 v[0:3], v[0:1], off
	global_load_dwordx4 v[44:47], v[9:10], off
	v_lshlrev_b64 v[4:5], 4, v[5:6]
	v_lshlrev_b64 v[7:8], 4, v[7:8]
	v_mov_b32_e32 v6, v13
	v_mad_u64_u32 v[9:10], null, s2, v16, 0
	v_add_nc_u32_e32 v24, 0x2a8, v146
	v_add_co_u32 v4, s0, v25, v4
	v_mad_u64_u32 v[13:14], null, s3, v14, v[6:7]
	v_mad_u64_u32 v[14:15], null, s2, v18, 0
	v_add_co_ci_u32_e64 v5, s0, v26, v5, s0
	v_mov_b32_e32 v6, v10
	v_add_co_u32 v7, s0, v25, v7
	v_add_co_ci_u32_e64 v8, s0, v26, v8, s0
	s_clause 0x1
	global_load_dwordx4 v[48:51], v[4:5], off
	global_load_dwordx4 v[36:39], v[7:8], off
	v_mad_u64_u32 v[10:11], null, s3, v16, v[6:7]
	v_mad_u64_u32 v[16:17], null, s2, v19, 0
	v_mov_b32_e32 v6, v15
	v_lshlrev_b64 v[4:5], 4, v[12:13]
	v_add_nc_u32_e32 v11, 0x220, v146
	v_add_nc_u32_e32 v27, 0x2ec, v146
	v_lshlrev_b64 v[8:9], 4, v[9:10]
	v_mad_u64_u32 v[6:7], null, s3, v18, v[6:7]
	v_mov_b32_e32 v7, v17
	v_add_co_u32 v4, s0, v25, v4
	v_add_co_ci_u32_e64 v5, s0, v26, v5, s0
	v_mad_u64_u32 v[20:21], null, s2, v27, 0
	v_mov_b32_e32 v15, v6
	v_mad_u64_u32 v[6:7], null, s3, v19, v[7:8]
	v_mad_u64_u32 v[18:19], null, s2, v11, 0
	v_add_co_u32 v7, s0, v25, v8
	v_add_co_ci_u32_e64 v8, s0, v26, v9, s0
	v_mov_b32_e32 v17, v6
	v_lshlrev_b64 v[9:10], 4, v[14:15]
	s_clause 0x1
	global_load_dwordx4 v[40:43], v[4:5], off
	global_load_dwordx4 v[12:15], v[7:8], off
	v_mov_b32_e32 v6, v19
	v_add_nc_u32_e32 v53, 0x330, v146
	v_lshlrev_b64 v[7:8], 4, v[16:17]
	v_mad_u64_u32 v[16:17], null, s2, v24, 0
	v_add_co_u32 v4, s0, v25, v9
	v_add_co_ci_u32_e64 v5, s0, v26, v10, s0
	v_mad_u64_u32 v[9:10], null, s3, v11, v[6:7]
	v_mad_u64_u32 v[10:11], null, s2, v22, 0
	v_add_co_u32 v6, s0, v25, v7
	v_add_co_ci_u32_e64 v7, s0, v26, v8, s0
	v_mov_b32_e32 v19, v9
	v_mov_b32_e32 v9, v17
	;; [unrolled: 1-line block ×3, first 2 shown]
	s_clause 0x1
	global_load_dwordx4 v[32:35], v[4:5], off
	global_load_dwordx4 v[28:31], v[6:7], off
	v_mov_b32_e32 v4, v21
	v_lshlrev_b64 v[5:6], 4, v[18:19]
	v_mad_u64_u32 v[22:23], null, s3, v22, v[8:9]
	v_mad_u64_u32 v[8:9], null, s3, v24, v[9:10]
	;; [unrolled: 1-line block ×3, first 2 shown]
	v_mov_b32_e32 v11, v22
	v_mov_b32_e32 v17, v8
	v_mad_u64_u32 v[7:8], null, s3, v27, v[4:5]
	v_mov_b32_e32 v4, v24
	v_add_co_u32 v5, s0, v25, v5
	v_lshlrev_b64 v[8:9], 4, v[10:11]
	v_lshlrev_b64 v[16:17], 4, v[16:17]
	v_add_co_ci_u32_e64 v6, s0, v26, v6, s0
	v_mad_u64_u32 v[10:11], null, s3, v53, v[4:5]
	v_mov_b32_e32 v21, v7
	v_add_co_u32 v7, s0, v25, v8
	v_add_co_ci_u32_e64 v8, s0, v26, v9, s0
	v_lshlrev_b64 v[18:19], 4, v[20:21]
	v_mov_b32_e32 v24, v10
	v_add_co_u32 v9, s0, v25, v16
	v_add_co_ci_u32_e64 v10, s0, v26, v17, s0
	v_lshlrev_b64 v[16:17], 4, v[23:24]
	v_add_co_u32 v53, s0, v25, v18
	v_add_co_ci_u32_e64 v54, s0, v26, v19, s0
	v_add_co_u32 v55, s0, v25, v16
	v_add_co_ci_u32_e64 v56, s0, v26, v17, s0
	s_clause 0x4
	global_load_dwordx4 v[24:27], v[5:6], off
	global_load_dwordx4 v[20:23], v[7:8], off
	;; [unrolled: 1-line block ×5, first 2 shown]
.LBB0_12:
	s_or_b32 exec_lo, exec_lo, s1
	s_waitcnt vmcnt(0)
	v_add_f64 v[53:54], v[46:47], -v[6:7]
	v_add_f64 v[55:56], v[44:45], v[0:1]
	s_mov_b32 s14, 0x42a4c3d2
	s_mov_b32 s36, 0x66966769
	;; [unrolled: 1-line block ×4, first 2 shown]
	v_add_f64 v[57:58], v[44:45], v[4:5]
	v_add_f64 v[59:60], v[50:51], -v[10:11]
	s_mov_b32 s4, 0x1ea71119
	s_mov_b32 s10, 0x2ef20147
	;; [unrolled: 1-line block ×8, first 2 shown]
	v_add_f64 v[61:62], v[48:49], v[8:9]
	v_add_f64 v[67:68], v[38:39], -v[18:19]
	s_mov_b32 s6, 0xb2365da1
	s_mov_b32 s22, 0x93053d00
	;; [unrolled: 1-line block ×4, first 2 shown]
	v_mul_f64 v[63:64], v[53:54], s[14:15]
	v_mul_f64 v[65:66], v[53:54], s[36:37]
	v_add_f64 v[55:56], v[48:49], v[55:56]
	v_mul_f64 v[94:95], v[53:54], s[10:11]
	s_mov_b32 s41, 0x3fedeba7
	s_mov_b32 s40, s10
	v_add_f64 v[69:70], v[16:17], v[36:37]
	v_mul_f64 v[80:81], v[59:60], s[10:11]
	v_mul_f64 v[82:83], v[59:60], s[34:35]
	v_add_f64 v[74:75], v[42:43], -v[22:23]
	s_mov_b32 s26, 0x24c2f84
	s_mov_b32 s27, 0xbfe5384d
	;; [unrolled: 1-line block ×4, first 2 shown]
	v_mul_f64 v[102:103], v[53:54], s[26:27]
	s_mov_b32 s44, 0x4267c47c
	v_mul_f64 v[115:116], v[59:60], s[38:39]
	v_mul_f64 v[96:97], v[67:68], s[34:35]
	;; [unrolled: 1-line block ×4, first 2 shown]
	s_mov_b32 s45, 0xbfddbe06
	v_add_f64 v[76:77], v[20:21], v[40:41]
	v_fma_f64 v[84:85], v[57:58], s[4:5], v[63:64]
	v_fma_f64 v[86:87], v[57:58], s[16:17], v[65:66]
	v_add_f64 v[55:56], v[36:37], v[55:56]
	v_fma_f64 v[117:118], v[57:58], s[6:7], v[94:95]
	v_mul_f64 v[53:54], v[53:54], s[44:45]
	s_mov_b32 s18, 0xd0032e0c
	s_mov_b32 s19, 0xbfe7f3cc
	v_fma_f64 v[105:106], v[61:62], s[6:7], v[80:81]
	v_fma_f64 v[107:108], v[61:62], s[22:23], v[82:83]
	v_mul_f64 v[100:101], v[74:75], s[38:39]
	s_mov_b32 s31, 0x3fddbe06
	s_mov_b32 s25, 0x3fefc445
	;; [unrolled: 1-line block ×4, first 2 shown]
	v_add_f64 v[78:79], v[14:15], -v[26:27]
	v_mul_f64 v[109:110], v[74:75], s[30:31]
	v_mul_f64 v[123:124], v[59:60], s[24:25]
	v_fma_f64 v[144:145], v[69:70], s[22:23], v[96:97]
	v_fma_f64 v[147:148], v[69:70], s[6:7], v[98:99]
	;; [unrolled: 1-line block ×3, first 2 shown]
	s_mov_b32 s20, 0xe00740e9
	v_mul_f64 v[138:139], v[59:60], s[30:31]
	v_add_f64 v[84:85], v[84:85], v[0:1]
	v_add_f64 v[86:87], v[86:87], v[0:1]
	;; [unrolled: 1-line block ×3, first 2 shown]
	v_fma_f64 v[155:156], v[57:58], s[22:23], v[125:126]
	v_fma_f64 v[125:126], v[57:58], s[22:23], -v[125:126]
	s_mov_b32 s21, 0x3fec55a7
	v_fma_f64 v[94:95], v[57:58], s[6:7], -v[94:95]
	v_fma_f64 v[102:103], v[57:58], s[18:19], -v[102:103]
	;; [unrolled: 1-line block ×4, first 2 shown]
	v_mul_f64 v[59:60], v[59:60], s[14:15]
	v_add_f64 v[88:89], v[12:13], v[24:25]
	v_mul_f64 v[130:131], v[67:68], s[30:31]
	v_mul_f64 v[132:133], v[67:68], s[14:15]
	;; [unrolled: 1-line block ×4, first 2 shown]
	v_fma_f64 v[151:152], v[76:77], s[20:21], v[109:110]
	v_fma_f64 v[163:164], v[61:62], s[16:17], v[123:124]
	v_mul_f64 v[140:141], v[67:68], s[26:27]
	v_add_f64 v[149:150], v[149:150], v[0:1]
	v_fma_f64 v[123:124], v[61:62], s[16:17], -v[123:124]
	v_fma_f64 v[80:81], v[61:62], s[6:7], -v[80:81]
	v_add_f64 v[84:85], v[105:106], v[84:85]
	v_add_f64 v[86:87], v[107:108], v[86:87]
	;; [unrolled: 1-line block ×3, first 2 shown]
	v_fma_f64 v[105:106], v[61:62], s[18:19], v[115:116]
	v_add_f64 v[107:108], v[117:118], v[0:1]
	v_fma_f64 v[117:118], v[76:77], s[18:19], v[100:101]
	v_add_f64 v[125:126], v[125:126], v[0:1]
	v_fma_f64 v[115:116], v[61:62], s[18:19], -v[115:116]
	v_add_f64 v[94:95], v[94:95], v[0:1]
	v_add_f64 v[102:103], v[102:103], v[0:1]
	v_fma_f64 v[82:83], v[61:62], s[22:23], -v[82:83]
	v_add_f64 v[63:64], v[63:64], v[0:1]
	v_add_f64 v[65:66], v[65:66], v[0:1]
	v_mul_f64 v[67:68], v[67:68], s[36:37]
	s_mov_b32 s43, 0x3fcea1e5
	s_mov_b32 s42, s34
	;; [unrolled: 1-line block ×4, first 2 shown]
	v_mul_f64 v[134:135], v[74:75], s[36:37]
	v_mul_f64 v[136:137], v[74:75], s[42:43]
	v_fma_f64 v[153:154], v[88:89], s[16:17], v[111:112]
	v_fma_f64 v[157:158], v[88:89], s[4:5], v[113:114]
	v_add_f64 v[84:85], v[144:145], v[84:85]
	v_add_f64 v[86:87], v[147:148], v[86:87]
	v_fma_f64 v[147:148], v[57:58], s[20:21], v[53:54]
	v_fma_f64 v[53:54], v[57:58], s[20:21], -v[53:54]
	v_add_f64 v[55:56], v[32:33], v[55:56]
	v_add_f64 v[105:106], v[105:106], v[107:108]
	v_fma_f64 v[107:108], v[61:62], s[20:21], v[138:139]
	v_fma_f64 v[138:139], v[61:62], s[20:21], -v[138:139]
	v_add_f64 v[57:58], v[155:156], v[0:1]
	v_fma_f64 v[144:145], v[69:70], s[20:21], v[130:131]
	v_fma_f64 v[165:166], v[69:70], s[4:5], v[132:133]
	v_add_f64 v[149:150], v[163:164], v[149:150]
	v_mul_f64 v[142:143], v[74:75], s[28:29]
	v_fma_f64 v[155:156], v[69:70], s[18:19], v[140:141]
	v_fma_f64 v[140:141], v[69:70], s[18:19], -v[140:141]
	v_add_f64 v[94:95], v[115:116], v[94:95]
	v_add_f64 v[102:103], v[123:124], v[102:103]
	v_fma_f64 v[96:97], v[69:70], s[22:23], -v[96:97]
	v_fma_f64 v[98:99], v[69:70], s[6:7], -v[98:99]
	v_add_f64 v[63:64], v[80:81], v[63:64]
	v_add_f64 v[65:66], v[82:83], v[65:66]
	v_mul_f64 v[74:75], v[74:75], s[10:11]
	v_add_f64 v[84:85], v[117:118], v[84:85]
	v_fma_f64 v[117:118], v[61:62], s[4:5], v[59:60]
	v_add_f64 v[147:148], v[147:148], v[0:1]
	v_fma_f64 v[59:60], v[61:62], s[4:5], -v[59:60]
	v_add_f64 v[0:1], v[53:54], v[0:1]
	v_add_f64 v[53:54], v[28:29], v[55:56]
	;; [unrolled: 1-line block ×3, first 2 shown]
	v_fma_f64 v[61:62], v[69:70], s[20:21], -v[130:131]
	v_add_f64 v[55:56], v[107:108], v[57:58]
	v_add_f64 v[57:58], v[138:139], v[125:126]
	v_fma_f64 v[107:108], v[69:70], s[4:5], -v[132:133]
	v_add_f64 v[90:91], v[34:35], -v[30:31]
	v_fma_f64 v[167:168], v[76:77], s[16:17], v[134:135]
	v_fma_f64 v[151:152], v[76:77], s[22:23], v[136:137]
	v_add_f64 v[105:106], v[144:145], v[105:106]
	v_add_f64 v[80:81], v[165:166], v[149:150]
	v_mul_f64 v[123:124], v[78:79], s[30:31]
	v_mul_f64 v[125:126], v[78:79], s[10:11]
	v_add_f64 v[92:93], v[32:33], v[28:29]
	v_add_f64 v[63:64], v[96:97], v[63:64]
	;; [unrolled: 1-line block ×3, first 2 shown]
	v_fma_f64 v[96:97], v[76:77], s[18:19], -v[100:101]
	v_add_f64 v[82:83], v[153:154], v[84:85]
	v_fma_f64 v[98:99], v[76:77], s[20:21], -v[109:110]
	v_add_f64 v[115:116], v[117:118], v[147:148]
	v_fma_f64 v[117:118], v[69:70], s[16:17], v[67:68]
	v_fma_f64 v[67:68], v[69:70], s[16:17], -v[67:68]
	v_add_f64 v[0:1], v[59:60], v[0:1]
	v_add_f64 v[53:54], v[24:25], v[53:54]
	;; [unrolled: 1-line block ×3, first 2 shown]
	v_mul_f64 v[86:87], v[78:79], s[42:43]
	v_add_f64 v[55:56], v[155:156], v[55:56]
	v_add_f64 v[57:58], v[140:141], v[57:58]
	v_fma_f64 v[59:60], v[76:77], s[4:5], v[142:143]
	v_fma_f64 v[69:70], v[76:77], s[4:5], -v[142:143]
	v_add_f64 v[61:62], v[61:62], v[94:95]
	v_add_f64 v[94:95], v[107:108], v[102:103]
	v_fma_f64 v[102:103], v[76:77], s[16:17], -v[134:135]
	v_fma_f64 v[107:108], v[76:77], s[22:23], -v[136:137]
	v_mul_f64 v[78:79], v[78:79], s[26:27]
	v_mul_f64 v[119:120], v[90:91], s[30:31]
	;; [unrolled: 1-line block ×3, first 2 shown]
	v_add_f64 v[105:106], v[167:168], v[105:106]
	v_add_f64 v[80:81], v[151:152], v[80:81]
	;; [unrolled: 1-line block ×4, first 2 shown]
	v_fma_f64 v[96:97], v[88:89], s[16:17], -v[111:112]
	v_add_f64 v[109:110], v[117:118], v[115:116]
	v_fma_f64 v[115:116], v[76:77], s[6:7], v[74:75]
	v_fma_f64 v[74:75], v[76:77], s[6:7], -v[74:75]
	v_add_f64 v[0:1], v[67:68], v[0:1]
	v_add_f64 v[53:54], v[20:21], v[53:54]
	v_fma_f64 v[100:101], v[88:89], s[22:23], v[86:87]
	v_fma_f64 v[117:118], v[88:89], s[20:21], v[123:124]
	v_mul_f64 v[67:68], v[90:91], s[28:29]
	v_mul_f64 v[76:77], v[90:91], s[10:11]
	v_add_f64 v[55:56], v[59:60], v[55:56]
	v_add_f64 v[57:58], v[69:70], v[57:58]
	v_fma_f64 v[59:60], v[88:89], s[6:7], v[125:126]
	v_fma_f64 v[69:70], v[88:89], s[6:7], -v[125:126]
	v_mul_f64 v[125:126], v[90:91], s[24:25]
	v_add_f64 v[61:62], v[102:103], v[61:62]
	v_add_f64 v[94:95], v[107:108], v[94:95]
	v_fma_f64 v[86:87], v[88:89], s[22:23], -v[86:87]
	v_fma_f64 v[102:103], v[88:89], s[20:21], -v[123:124]
	v_fma_f64 v[98:99], v[88:89], s[4:5], -v[113:114]
	v_mul_f64 v[90:91], v[90:91], s[34:35]
	v_mul_hi_u32 v71, 0xaaaaaaab, v52
	v_fma_f64 v[159:160], v[92:93], s[20:21], v[119:120]
	v_fma_f64 v[161:162], v[92:93], s[18:19], v[121:122]
	v_add_f64 v[107:108], v[115:116], v[109:110]
	v_fma_f64 v[109:110], v[88:89], s[18:19], v[78:79]
	v_fma_f64 v[78:79], v[88:89], s[18:19], -v[78:79]
	v_add_f64 v[0:1], v[74:75], v[0:1]
	v_add_f64 v[53:54], v[16:17], v[53:54]
	;; [unrolled: 1-line block ×4, first 2 shown]
	v_fma_f64 v[88:89], v[92:93], s[4:5], v[67:68]
	v_fma_f64 v[100:101], v[92:93], s[6:7], v[76:77]
	v_fma_f64 v[67:68], v[92:93], s[4:5], -v[67:68]
	v_add_f64 v[55:56], v[59:60], v[55:56]
	v_add_f64 v[57:58], v[69:70], v[57:58]
	v_fma_f64 v[59:60], v[92:93], s[16:17], v[125:126]
	v_fma_f64 v[69:70], v[92:93], s[16:17], -v[125:126]
	v_fma_f64 v[76:77], v[92:93], s[6:7], -v[76:77]
	v_add_f64 v[61:62], v[86:87], v[61:62]
	v_add_f64 v[86:87], v[102:103], v[94:95]
	;; [unrolled: 1-line block ×4, first 2 shown]
	v_fma_f64 v[94:95], v[92:93], s[20:21], -v[119:120]
	v_fma_f64 v[96:97], v[92:93], s[18:19], -v[121:122]
	v_fma_f64 v[102:103], v[92:93], s[22:23], v[90:91]
	v_fma_f64 v[90:91], v[92:93], s[22:23], -v[90:91]
	v_add_f64 v[98:99], v[109:110], v[107:108]
	v_lshrrev_b32_e32 v71, 1, v71
	v_add_f64 v[0:1], v[78:79], v[0:1]
	v_add_f64 v[53:54], v[8:9], v[53:54]
	;; [unrolled: 1-line block ×4, first 2 shown]
	v_lshl_add_u32 v71, v71, 1, v71
	v_add_f64 v[88:89], v[88:89], v[74:75]
	v_add_f64 v[92:93], v[100:101], v[80:81]
	v_cmp_gt_u32_e64 s0, 17, v146
	v_sub_nc_u32_e32 v52, v52, v71
	v_add_f64 v[55:56], v[59:60], v[55:56]
	v_add_f64 v[57:58], v[69:70], v[57:58]
	;; [unrolled: 1-line block ×4, first 2 shown]
	v_mul_u32_u24_e32 v79, 0x374, v52
	v_add_f64 v[63:64], v[94:95], v[63:64]
	v_add_f64 v[65:66], v[96:97], v[65:66]
	v_lshl_add_u32 v71, v79, 3, 0
	v_add_f64 v[67:68], v[102:103], v[98:99]
	v_lshlrev_b32_e32 v107, 3, v79
	v_add_f64 v[80:81], v[90:91], v[0:1]
	v_add_f64 v[52:53], v[4:5], v[53:54]
	v_mad_u32_u24 v0, 0x68, v146, v71
	v_lshl_add_u32 v106, v146, 3, v71
	v_lshl_add_u32 v75, v73, 3, v71
	;; [unrolled: 1-line block ×3, first 2 shown]
	v_lshlrev_b32_e32 v79, 3, v104
	v_mad_i32_i24 v105, 0xffffffa0, v146, v0
                                        ; implicit-def: $vgpr90_vgpr91
	ds_write2_b64 v0, v[82:83], v[84:85] offset0:2 offset1:3
	ds_write2_b64 v0, v[88:89], v[92:93] offset0:4 offset1:5
	;; [unrolled: 1-line block ×5, first 2 shown]
	ds_write_b64 v0, v[80:81] offset:96
	ds_write2_b64 v0, v[52:53], v[67:68] offset1:1
	v_add_nc_u32_e32 v1, 0x400, v105
	v_add_nc_u32_e32 v77, 0x800, v105
	;; [unrolled: 1-line block ×4, first 2 shown]
	s_waitcnt lgkmcnt(0)
	s_barrier
	buffer_gl0_inv
	ds_read_b64 v[84:85], v106
	ds_read_b64 v[82:83], v75
	;; [unrolled: 1-line block ×3, first 2 shown]
	ds_read_b64 v[88:89], v105 offset:6392
	ds_read2_b64 v[64:67], v1 offset0:93 offset1:161
	ds_read2_b64 v[56:59], v77 offset0:101 offset1:186
	;; [unrolled: 1-line block ×4, first 2 shown]
                                        ; implicit-def: $vgpr60_vgpr61
	s_and_saveexec_b32 s1, s0
	s_cbranch_execz .LBB0_14
; %bb.13:
	v_add_nc_u32_e32 v60, 0xd00, v105
	v_add3_u32 v80, 0, v79, v107
	ds_read2_b64 v[60:63], v60 offset0:9 offset1:230
	ds_read_b64 v[80:81], v80
	ds_read_b64 v[90:91], v105 offset:6936
.LBB0_14:
	s_or_b32 exec_lo, exec_lo, s1
	v_add_f64 v[92:93], v[46:47], v[2:3]
	v_add_f64 v[28:29], v[32:33], -v[28:29]
	v_add_f64 v[4:5], v[44:45], -v[4:5]
	v_add_f64 v[8:9], v[48:49], -v[8:9]
	v_add_f64 v[44:45], v[46:47], v[6:7]
	v_add_f64 v[16:17], v[36:37], -v[16:17]
	v_add_f64 v[36:37], v[50:51], v[10:11]
	v_add_f64 v[46:47], v[18:19], v[38:39]
	v_add_f64 v[20:21], v[40:41], -v[20:21]
	v_add_f64 v[40:41], v[14:15], v[26:27]
	v_add_f64 v[12:13], v[12:13], -v[24:25]
	v_add_f64 v[24:25], v[34:35], v[30:31]
	v_add_f64 v[48:49], v[22:23], v[42:43]
	s_waitcnt lgkmcnt(0)
	s_barrier
	buffer_gl0_inv
	v_add_f64 v[92:93], v[50:51], v[92:93]
	v_mul_f64 v[142:143], v[28:29], s[34:35]
	v_mul_f64 v[50:51], v[4:5], s[14:15]
	;; [unrolled: 1-line block ×21, first 2 shown]
	v_add_f64 v[32:33], v[38:39], v[92:93]
	v_mul_f64 v[38:39], v[4:5], s[44:45]
	v_mul_f64 v[92:93], v[4:5], s[36:37]
	;; [unrolled: 1-line block ×3, first 2 shown]
	v_fma_f64 v[155:156], v[44:45], s[4:5], -v[50:51]
	v_fma_f64 v[50:51], v[44:45], s[4:5], v[50:51]
	v_fma_f64 v[159:160], v[44:45], s[18:19], -v[96:97]
	v_fma_f64 v[96:97], v[44:45], s[18:19], v[96:97]
	;; [unrolled: 2-line block ×7, first 2 shown]
	v_fma_f64 v[173:174], v[46:47], s[22:23], -v[114:115]
	v_fma_f64 v[175:176], v[46:47], s[20:21], -v[118:119]
	v_fma_f64 v[118:119], v[46:47], s[20:21], v[118:119]
	v_fma_f64 v[177:178], v[46:47], s[4:5], -v[120:121]
	v_add_f64 v[32:33], v[42:43], v[32:33]
	v_fma_f64 v[153:154], v[44:45], s[20:21], -v[38:39]
	v_fma_f64 v[157:158], v[44:45], s[16:17], -v[92:93]
	;; [unrolled: 1-line block ×3, first 2 shown]
	v_fma_f64 v[4:5], v[44:45], s[22:23], v[4:5]
	v_fma_f64 v[92:93], v[44:45], s[16:17], v[92:93]
	v_fma_f64 v[38:39], v[44:45], s[20:21], v[38:39]
	v_fma_f64 v[120:121], v[46:47], s[4:5], v[120:121]
	v_fma_f64 v[179:180], v[46:47], s[18:19], -v[16:17]
	v_fma_f64 v[16:17], v[46:47], s[18:19], v[16:17]
	v_add_f64 v[50:51], v[50:51], v[2:3]
	v_add_f64 v[96:97], v[96:97], v[2:3]
	v_mul_f64 v[42:43], v[20:21], s[36:37]
	v_mul_f64 v[20:21], v[20:21], s[28:29]
	;; [unrolled: 1-line block ×6, first 2 shown]
	v_fma_f64 v[183:184], v[48:49], s[22:23], -v[130:131]
	v_mul_f64 v[12:13], v[12:13], s[10:11]
	v_mul_f64 v[144:145], v[28:29], s[30:31]
	;; [unrolled: 1-line block ×3, first 2 shown]
	v_add_f64 v[14:15], v[14:15], v[32:33]
	v_fma_f64 v[32:33], v[44:45], s[6:7], -v[94:95]
	v_fma_f64 v[94:95], v[44:45], s[6:7], v[94:95]
	v_fma_f64 v[44:45], v[36:37], s[4:5], -v[98:99]
	v_fma_f64 v[98:99], v[36:37], s[4:5], v[98:99]
	;; [unrolled: 2-line block ×3, first 2 shown]
	v_add_f64 v[4:5], v[4:5], v[2:3]
	v_add_f64 v[92:93], v[92:93], v[2:3]
	v_mul_f64 v[149:150], v[28:29], s[28:29]
	v_add_f64 v[50:51], v[100:101], v[50:51]
	v_mul_f64 v[151:152], v[28:29], s[10:11]
	v_fma_f64 v[181:182], v[48:49], s[16:17], -v[42:43]
	v_fma_f64 v[42:43], v[48:49], s[16:17], v[42:43]
	v_mul_f64 v[28:29], v[28:29], s[24:25]
	v_add_f64 v[14:15], v[34:35], v[14:15]
	v_fma_f64 v[34:35], v[46:47], s[22:23], v[114:115]
	v_fma_f64 v[114:115], v[46:47], s[6:7], -v[116:117]
	v_fma_f64 v[116:117], v[46:47], s[6:7], v[116:117]
	v_add_f64 v[46:47], v[153:154], v[2:3]
	v_add_f64 v[153:154], v[155:156], v[2:3]
	v_add_f64 v[155:156], v[157:158], v[2:3]
	v_add_f64 v[32:33], v[32:33], v[2:3]
	v_add_f64 v[94:95], v[94:95], v[2:3]
	v_add_f64 v[157:158], v[159:160], v[2:3]
	v_add_f64 v[159:160], v[161:162], v[2:3]
	v_add_f64 v[2:3], v[38:39], v[2:3]
	v_add_f64 v[4:5], v[8:9], v[4:5]
	v_add_f64 v[8:9], v[110:111], v[96:97]
	v_add_f64 v[92:93], v[102:103], v[92:93]
	v_fma_f64 v[38:39], v[48:49], s[6:7], v[122:123]
	v_fma_f64 v[161:162], v[48:49], s[20:21], -v[126:127]
	v_fma_f64 v[96:97], v[48:49], s[4:5], -v[20:21]
	v_fma_f64 v[20:21], v[48:49], s[4:5], v[20:21]
	v_fma_f64 v[126:127], v[48:49], s[20:21], v[126:127]
	v_fma_f64 v[102:103], v[40:41], s[16:17], -v[134:135]
	v_fma_f64 v[110:111], v[40:41], s[16:17], v[134:135]
	v_add_f64 v[14:15], v[30:31], v[14:15]
	v_fma_f64 v[30:31], v[48:49], s[6:7], -v[122:123]
	v_fma_f64 v[122:123], v[48:49], s[18:19], -v[124:125]
	v_add_f64 v[34:35], v[34:35], v[50:51]
	v_add_f64 v[44:45], v[44:45], v[46:47]
	;; [unrolled: 1-line block ×11, first 2 shown]
	v_fma_f64 v[124:125], v[48:49], s[18:19], v[124:125]
	v_add_f64 v[16:17], v[116:117], v[92:93]
	v_fma_f64 v[92:93], v[40:41], s[22:23], v[138:139]
	v_fma_f64 v[98:99], v[40:41], s[18:19], v[132:133]
	;; [unrolled: 1-line block ×3, first 2 shown]
	v_fma_f64 v[120:121], v[24:25], s[16:17], -v[28:29]
	v_add_f64 v[14:15], v[26:27], v[14:15]
	v_fma_f64 v[26:27], v[48:49], s[22:23], v[130:131]
	v_fma_f64 v[48:49], v[40:41], s[18:19], -v[132:133]
	v_fma_f64 v[130:131], v[40:41], s[4:5], -v[136:137]
	v_add_f64 v[36:37], v[36:37], v[44:45]
	v_add_f64 v[44:45], v[173:174], v[46:47]
	;; [unrolled: 1-line block ×8, first 2 shown]
	v_fma_f64 v[108:109], v[40:41], s[20:21], -v[140:141]
	v_fma_f64 v[114:115], v[40:41], s[6:7], -v[12:13]
	v_fma_f64 v[12:13], v[40:41], s[6:7], v[12:13]
	v_add_f64 v[4:5], v[20:21], v[4:5]
	v_fma_f64 v[112:113], v[40:41], s[20:21], v[140:141]
	v_fma_f64 v[132:133], v[40:41], s[4:5], v[136:137]
	v_add_f64 v[34:35], v[124:125], v[34:35]
	v_add_f64 v[16:17], v[126:127], v[16:17]
	v_fma_f64 v[118:119], v[24:25], s[20:21], -v[144:145]
	v_fma_f64 v[20:21], v[24:25], s[18:19], -v[147:148]
	v_add_f64 v[14:15], v[22:23], v[14:15]
	v_fma_f64 v[22:23], v[40:41], s[22:23], -v[138:139]
	v_add_f64 v[8:9], v[26:27], v[8:9]
	;; [unrolled: 2-line block ×3, first 2 shown]
	v_add_f64 v[36:37], v[122:123], v[44:45]
	v_add_f64 v[44:45], v[161:162], v[46:47]
	;; [unrolled: 1-line block ×7, first 2 shown]
	v_fma_f64 v[26:27], v[24:25], s[18:19], v[147:148]
	v_fma_f64 v[38:39], v[24:25], s[4:5], -v[149:150]
	v_fma_f64 v[94:95], v[24:25], s[4:5], v[149:150]
	v_fma_f64 v[96:97], v[24:25], s[6:7], -v[151:152]
	v_fma_f64 v[100:101], v[24:25], s[6:7], v[151:152]
	v_add_f64 v[4:5], v[12:13], v[4:5]
	v_add_f64 v[34:35], v[110:111], v[34:35]
	;; [unrolled: 1-line block ×4, first 2 shown]
	v_fma_f64 v[18:19], v[24:25], s[20:21], v[144:145]
	v_fma_f64 v[24:25], v[24:25], s[16:17], v[28:29]
	v_add_f64 v[8:9], v[112:113], v[8:9]
	v_add_f64 v[28:29], v[48:49], v[30:31]
	;; [unrolled: 1-line block ×22, first 2 shown]
                                        ; implicit-def: $vgpr38_vgpr39
	v_add_f64 v[2:3], v[6:7], v[10:11]
                                        ; implicit-def: $vgpr10_vgpr11
	ds_write2_b64 v0, v[16:17], v[20:21] offset0:2 offset1:3
	ds_write2_b64 v0, v[22:23], v[30:31] offset0:4 offset1:5
	;; [unrolled: 1-line block ×5, first 2 shown]
	ds_write_b64 v0, v[50:51] offset:96
	ds_write2_b64 v0, v[2:3], v[14:15] offset1:1
	s_waitcnt lgkmcnt(0)
	s_barrier
	buffer_gl0_inv
	ds_read_b64 v[92:93], v106
	ds_read2_b64 v[0:3], v1 offset0:93 offset1:161
	ds_read2_b64 v[30:33], v77 offset0:101 offset1:186
	;; [unrolled: 1-line block ×4, first 2 shown]
	ds_read_b64 v[94:95], v75
	ds_read_b64 v[96:97], v74
	ds_read_b64 v[8:9], v105 offset:6392
	s_and_saveexec_b32 s1, s0
	s_cbranch_execz .LBB0_16
; %bb.15:
	v_add_nc_u32_e32 v10, 0xd00, v105
	v_add3_u32 v11, 0, v79, v107
	ds_read2_b64 v[38:41], v10 offset0:9 offset1:230
	ds_read_b64 v[50:51], v11
	ds_read_b64 v[10:11], v105 offset:6936
.LBB0_16:
	s_or_b32 exec_lo, exec_lo, s1
	v_and_b32_e32 v12, 0xff, v146
	v_and_b32_e32 v13, 0xff, v72
	;; [unrolled: 1-line block ×3, first 2 shown]
	v_mov_b32_e32 v15, 0x4ec5
	v_mov_b32_e32 v109, 3
	v_mul_lo_u16 v12, 0x4f, v12
	v_mul_lo_u16 v13, 0x4f, v13
	;; [unrolled: 1-line block ×3, first 2 shown]
	v_lshrrev_b16 v128, 10, v12
	v_mul_u32_u24_sdwa v12, v104, v15 dst_sel:DWORD dst_unused:UNUSED_PAD src0_sel:WORD_0 src1_sel:DWORD
	v_lshrrev_b16 v129, 10, v13
	v_lshrrev_b16 v144, 10, v14
	v_mul_lo_u16 v13, v128, 13
	v_lshrrev_b32_e32 v12, 18, v12
	v_mul_lo_u16 v14, v129, 13
	v_mul_lo_u16 v15, v144, 13
	v_sub_nc_u16 v145, v146, v13
	v_mul_lo_u16 v12, v12, 13
	v_sub_nc_u16 v147, v72, v14
	v_sub_nc_u16 v148, v73, v15
	v_mul_u32_u24_sdwa v13, v145, v109 dst_sel:DWORD dst_unused:UNUSED_PAD src0_sel:BYTE_0 src1_sel:DWORD
	v_sub_nc_u16 v108, v104, v12
	v_mul_u32_u24_sdwa v12, v147, v109 dst_sel:DWORD dst_unused:UNUSED_PAD src0_sel:BYTE_0 src1_sel:DWORD
	v_mul_u32_u24_sdwa v14, v148, v109 dst_sel:DWORD dst_unused:UNUSED_PAD src0_sel:BYTE_0 src1_sel:DWORD
	v_lshlrev_b32_e32 v16, 4, v13
	v_mul_u32_u24_sdwa v17, v108, v109 dst_sel:DWORD dst_unused:UNUSED_PAD src0_sel:WORD_0 src1_sel:DWORD
	v_lshlrev_b32_e32 v24, 4, v12
	v_lshlrev_b32_e32 v28, 4, v14
	s_clause 0x1
	global_load_dwordx4 v[42:45], v16, s[8:9] offset:16
	global_load_dwordx4 v[12:15], v16, s[8:9]
	v_lshlrev_b32_e32 v29, 4, v17
	s_clause 0x9
	global_load_dwordx4 v[16:19], v16, s[8:9] offset:32
	global_load_dwordx4 v[20:23], v24, s[8:9]
	global_load_dwordx4 v[46:49], v24, s[8:9] offset:16
	global_load_dwordx4 v[24:27], v24, s[8:9] offset:32
	global_load_dwordx4 v[98:101], v28, s[8:9]
	global_load_dwordx4 v[72:75], v28, s[8:9] offset:16
	global_load_dwordx4 v[110:113], v28, s[8:9] offset:32
	global_load_dwordx4 v[114:117], v29, s[8:9]
	global_load_dwordx4 v[76:79], v29, s[8:9] offset:16
	global_load_dwordx4 v[118:121], v29, s[8:9] offset:32
	s_waitcnt vmcnt(0) lgkmcnt(0)
	s_barrier
	buffer_gl0_inv
	v_mul_f64 v[122:123], v[4:5], v[18:19]
	v_mul_f64 v[124:125], v[2:3], v[22:23]
	;; [unrolled: 1-line block ×20, first 2 shown]
	v_fma_f64 v[68:69], v[68:69], v[16:17], v[122:123]
	v_fma_f64 v[122:123], v[66:67], v[20:21], v[124:125]
	;; [unrolled: 1-line block ×12, first 2 shown]
	v_fma_f64 v[56:57], v[0:1], v[12:13], -v[14:15]
	v_fma_f64 v[0:1], v[4:5], v[16:17], -v[18:19]
	v_fma_f64 v[64:65], v[2:3], v[20:21], -v[22:23]
	v_fma_f64 v[2:3], v[6:7], v[24:25], -v[26:27]
	v_fma_f64 v[60:61], v[30:31], v[98:99], -v[100:101]
	v_fma_f64 v[4:5], v[8:9], v[110:111], -v[112:113]
	v_fma_f64 v[38:39], v[38:39], v[114:115], -v[116:117]
	v_fma_f64 v[6:7], v[10:11], v[118:119], -v[120:121]
	v_add_f64 v[16:17], v[86:87], -v[124:125]
	v_add_f64 v[22:23], v[82:83], -v[130:131]
	v_add_f64 v[8:9], v[84:85], -v[102:103]
	v_add_f64 v[66:67], v[28:29], -v[68:69]
	v_add_f64 v[68:69], v[122:123], -v[70:71]
	v_add_f64 v[70:71], v[126:127], -v[88:89]
	v_add_f64 v[24:25], v[80:81], -v[134:135]
	v_add_f64 v[88:89], v[132:133], -v[90:91]
	v_add_f64 v[100:101], v[56:57], -v[0:1]
	v_add_f64 v[102:103], v[64:65], -v[2:3]
	v_add_f64 v[98:99], v[60:61], -v[4:5]
	v_add_f64 v[90:91], v[38:39], -v[6:7]
	v_fma_f64 v[30:31], v[86:87], 2.0, -v[16:17]
	v_and_b32_e32 v86, 0xffff, v144
	v_fma_f64 v[82:83], v[82:83], 2.0, -v[22:23]
	v_fma_f64 v[2:3], v[84:85], 2.0, -v[8:9]
	;; [unrolled: 1-line block ×7, first 2 shown]
	v_and_b32_e32 v84, 0xffff, v128
	v_add_f64 v[0:1], v[8:9], v[100:101]
	v_and_b32_e32 v85, 0xffff, v129
	v_add_f64 v[4:5], v[16:17], v[102:103]
	v_add_f64 v[20:21], v[22:23], v[98:99]
	;; [unrolled: 1-line block ×3, first 2 shown]
	v_add_f64 v[14:15], v[2:3], -v[6:7]
	v_add_f64 v[10:11], v[30:31], -v[10:11]
	;; [unrolled: 1-line block ×4, first 2 shown]
	v_fma_f64 v[12:13], v[8:9], 2.0, -v[0:1]
	v_fma_f64 v[8:9], v[16:17], 2.0, -v[4:5]
	;; [unrolled: 1-line block ×7, first 2 shown]
	v_mad_u32_u24 v30, 0x1a0, v84, 0
	v_fma_f64 v[22:23], v[80:81], 2.0, -v[26:27]
	v_mad_u32_u24 v31, 0x1a0, v85, 0
	v_mad_u32_u24 v81, 0x1a0, v86, 0
	v_lshlrev_b32_sdwa v82, v109, v145 dst_sel:DWORD dst_unused:UNUSED_PAD src0_sel:DWORD src1_sel:BYTE_0
	v_lshlrev_b32_sdwa v84, v109, v147 dst_sel:DWORD dst_unused:UNUSED_PAD src0_sel:DWORD src1_sel:BYTE_0
	;; [unrolled: 1-line block ×3, first 2 shown]
	v_and_b32_e32 v80, 0xff, v104
	v_add3_u32 v83, v30, v82, v107
	v_add3_u32 v82, v31, v84, v107
	;; [unrolled: 1-line block ×3, first 2 shown]
	ds_write2_b64 v83, v[14:15], v[0:1] offset0:26 offset1:39
	ds_write2_b64 v83, v[130:131], v[12:13] offset1:13
	ds_write2_b64 v82, v[2:3], v[8:9] offset1:13
	ds_write2_b64 v82, v[10:11], v[4:5] offset0:26 offset1:39
	ds_write2_b64 v81, v[6:7], v[16:17] offset1:13
	ds_write2_b64 v81, v[18:19], v[20:21] offset0:26 offset1:39
	s_and_saveexec_b32 s1, s0
	s_cbranch_execz .LBB0_18
; %bb.17:
	v_mul_lo_u16 v30, 0x4f, v80
	v_lshlrev_b32_sdwa v31, v109, v108 dst_sel:DWORD dst_unused:UNUSED_PAD src0_sel:DWORD src1_sel:WORD_0
	v_lshrrev_b16 v30, 10, v30
	v_and_b32_e32 v30, 0xffff, v30
	v_mad_u32_u24 v30, 0x1a0, v30, 0
	v_add3_u32 v30, v30, v31, v107
	ds_write2_b64 v30, v[22:23], v[24:25] offset1:13
	ds_write2_b64 v30, v[26:27], v[28:29] offset0:26 offset1:39
.LBB0_18:
	s_or_b32 exec_lo, exec_lo, s1
	v_cmp_gt_u32_e64 s1, 52, v146
	s_waitcnt lgkmcnt(0)
	s_barrier
	buffer_gl0_inv
	s_and_saveexec_b32 s4, s1
	s_cbranch_execz .LBB0_20
; %bb.19:
	v_add_nc_u32_e32 v4, 0x800, v105
	v_add_nc_u32_e32 v16, 0xc00, v105
	v_add_nc_u32_e32 v24, 0x1000, v105
	v_add_nc_u32_e32 v28, 0x1800, v105
	ds_read_b64 v[130:131], v106
	ds_read2_b64 v[12:15], v105 offset0:52 offset1:104
	ds_read2_b64 v[0:3], v105 offset0:156 offset1:208
	;; [unrolled: 1-line block ×8, first 2 shown]
.LBB0_20:
	s_or_b32 exec_lo, exec_lo, s4
	v_mul_f64 v[44:45], v[58:59], v[44:45]
	v_mul_f64 v[48:49], v[52:53], v[48:49]
	;; [unrolled: 1-line block ×4, first 2 shown]
	v_fma_f64 v[58:59], v[60:61], 2.0, -v[98:99]
	v_fma_f64 v[38:39], v[38:39], 2.0, -v[90:91]
	s_waitcnt lgkmcnt(0)
	s_barrier
	buffer_gl0_inv
	v_fma_f64 v[32:33], v[32:33], v[42:43], -v[44:45]
	v_fma_f64 v[34:35], v[34:35], v[46:47], -v[48:49]
	v_fma_f64 v[36:37], v[36:37], v[72:73], -v[52:53]
	v_fma_f64 v[40:41], v[40:41], v[76:77], -v[54:55]
	v_fma_f64 v[42:43], v[64:65], 2.0, -v[102:103]
	v_add_f64 v[44:45], v[92:93], -v[32:33]
	v_add_f64 v[34:35], v[96:97], -v[34:35]
	;; [unrolled: 1-line block ×4, first 2 shown]
	v_fma_f64 v[40:41], v[56:57], 2.0, -v[100:101]
	v_fma_f64 v[56:57], v[92:93], 2.0, -v[44:45]
	;; [unrolled: 1-line block ×5, first 2 shown]
	v_add_f64 v[32:33], v[44:45], -v[66:67]
	v_add_f64 v[36:37], v[34:35], -v[68:69]
	;; [unrolled: 1-line block ×8, first 2 shown]
	v_fma_f64 v[44:45], v[44:45], 2.0, -v[32:33]
	v_fma_f64 v[40:41], v[34:35], 2.0, -v[36:37]
	;; [unrolled: 1-line block ×8, first 2 shown]
	ds_write2_b64 v83, v[46:47], v[32:33] offset0:26 offset1:39
	ds_write2_b64 v83, v[132:133], v[44:45] offset1:13
	ds_write2_b64 v82, v[34:35], v[40:41] offset1:13
	ds_write2_b64 v82, v[42:43], v[36:37] offset0:26 offset1:39
	ds_write2_b64 v81, v[38:39], v[48:49] offset1:13
	ds_write2_b64 v81, v[50:51], v[52:53] offset0:26 offset1:39
	s_and_saveexec_b32 s4, s0
	s_cbranch_execz .LBB0_22
; %bb.21:
	v_mul_lo_u16 v62, 0x4f, v80
	v_mov_b32_e32 v63, 3
	v_lshrrev_b16 v62, 10, v62
	v_lshlrev_b32_sdwa v63, v63, v108 dst_sel:DWORD dst_unused:UNUSED_PAD src0_sel:DWORD src1_sel:WORD_0
	v_and_b32_e32 v62, 0xffff, v62
	v_mad_u32_u24 v62, 0x1a0, v62, 0
	v_add3_u32 v62, v62, v63, v107
	ds_write2_b64 v62, v[54:55], v[56:57] offset1:13
	ds_write2_b64 v62, v[58:59], v[60:61] offset0:26 offset1:39
.LBB0_22:
	s_or_b32 exec_lo, exec_lo, s4
	s_waitcnt lgkmcnt(0)
	s_barrier
	buffer_gl0_inv
	s_and_saveexec_b32 s0, s1
	s_cbranch_execnz .LBB0_25
; %bb.23:
	s_or_b32 exec_lo, exec_lo, s0
	s_and_b32 s0, vcc_lo, s1
	s_and_saveexec_b32 s1, s0
	s_cbranch_execnz .LBB0_26
.LBB0_24:
	s_endpgm
.LBB0_25:
	v_add_nc_u32_e32 v36, 0x800, v105
	v_add_nc_u32_e32 v48, 0xc00, v105
	;; [unrolled: 1-line block ×4, first 2 shown]
	ds_read_b64 v[132:133], v106
	ds_read2_b64 v[44:47], v105 offset0:52 offset1:104
	ds_read2_b64 v[32:35], v105 offset0:156 offset1:208
	;; [unrolled: 1-line block ×8, first 2 shown]
	s_or_b32 exec_lo, exec_lo, s0
	s_and_b32 s0, vcc_lo, s1
	s_and_saveexec_b32 s1, s0
	s_cbranch_execz .LBB0_24
.LBB0_26:
	v_lshlrev_b32_e32 v64, 4, v146
	v_mov_b32_e32 v65, 0
	s_mov_b32 s4, 0xacd6c6b4
	s_mov_b32 s5, 0xbfc7851a
	;; [unrolled: 1-line block ×4, first 2 shown]
	v_lshlrev_b64 v[64:65], 4, v[64:65]
	s_mov_b32 s18, 0x5d8e7cdc
	s_mov_b32 s6, 0x7faef3
	;; [unrolled: 1-line block ×5, first 2 shown]
	v_add_co_u32 v84, vcc_lo, s8, v64
	v_add_co_ci_u32_e32 v85, vcc_lo, s9, v65, vcc_lo
	s_mov_b32 s8, 0x4363dd80
	s_mov_b32 s9, 0xbfe0d888
	s_clause 0xf
	global_load_dwordx4 v[64:67], v[84:85], off offset:624
	global_load_dwordx4 v[76:79], v[84:85], off offset:864
	;; [unrolled: 1-line block ×16, first 2 shown]
	s_mov_b32 s19, 0x3fd71e95
	s_mov_b32 s7, 0xbfef7484
	;; [unrolled: 1-line block ×37, first 2 shown]
	s_waitcnt vmcnt(15) lgkmcnt(7)
	v_mul_f64 v[134:135], v[44:45], v[66:67]
	s_waitcnt vmcnt(14) lgkmcnt(0)
	v_mul_f64 v[136:137], v[62:63], v[78:79]
	v_mul_f64 v[138:139], v[12:13], v[66:67]
	;; [unrolled: 1-line block ×3, first 2 shown]
	s_waitcnt vmcnt(13)
	v_mul_f64 v[140:141], v[46:47], v[70:71]
	s_waitcnt vmcnt(12)
	v_mul_f64 v[142:143], v[60:61], v[94:95]
	v_mul_f64 v[70:71], v[14:15], v[70:71]
	;; [unrolled: 1-line block ×3, first 2 shown]
	s_waitcnt vmcnt(8)
	v_mul_f64 v[151:152], v[56:57], v[126:127]
	v_mul_f64 v[126:127], v[24:25], v[126:127]
	;; [unrolled: 1-line block ×4, first 2 shown]
	s_waitcnt vmcnt(3)
	v_mul_f64 v[161:162], v[36:37], v[98:99]
	v_mul_f64 v[74:75], v[0:1], v[74:75]
	;; [unrolled: 1-line block ×9, first 2 shown]
	s_waitcnt vmcnt(2)
	v_mul_f64 v[163:164], v[50:51], v[102:103]
	v_fma_f64 v[12:13], v[12:13], v[64:65], v[134:135]
	v_fma_f64 v[128:129], v[30:31], v[76:77], v[136:137]
	v_fma_f64 v[30:31], v[44:45], v[64:65], -v[138:139]
	v_fma_f64 v[66:67], v[62:63], v[76:77], -v[78:79]
	v_mul_f64 v[98:99], v[4:5], v[98:99]
	s_waitcnt vmcnt(1)
	v_mul_f64 v[165:166], v[38:39], v[82:83]
	v_fma_f64 v[14:15], v[14:15], v[68:69], v[140:141]
	v_fma_f64 v[62:63], v[28:29], v[92:93], v[142:143]
	v_fma_f64 v[28:29], v[46:47], v[68:69], -v[70:71]
	v_fma_f64 v[46:47], v[60:61], v[92:93], -v[94:95]
	;; [unrolled: 1-line block ×3, first 2 shown]
	v_mul_f64 v[90:91], v[2:3], v[90:91]
	v_fma_f64 v[126:127], v[4:5], v[96:97], v[161:162]
	v_mul_f64 v[110:111], v[10:11], v[110:111]
	v_mul_f64 v[102:103], v[18:19], v[102:103]
	s_waitcnt vmcnt(0)
	v_mul_f64 v[167:168], v[48:49], v[86:87]
	v_mul_f64 v[82:83], v[6:7], v[82:83]
	v_fma_f64 v[169:170], v[0:1], v[72:73], v[144:145]
	v_fma_f64 v[60:61], v[26:27], v[104:105], v[147:148]
	v_fma_f64 v[26:27], v[32:33], v[72:73], -v[74:75]
	v_fma_f64 v[32:33], v[58:59], v[104:105], -v[106:107]
	v_fma_f64 v[147:148], v[2:3], v[88:89], v[149:150]
	buffer_store_dword v128, off, s[56:59], 0 ; 4-byte Folded Spill
	buffer_store_dword v129, off, s[56:59], 0 offset:4 ; 4-byte Folded Spill
	v_add_f64 v[4:5], v[132:133], v[30:31]
	v_add_f64 v[138:139], v[30:31], -v[66:67]
	v_fma_f64 v[58:59], v[24:25], v[124:125], v[151:152]
	v_fma_f64 v[0:1], v[8:9], v[112:113], v[153:154]
	v_fma_f64 v[2:3], v[40:41], v[112:113], -v[114:115]
	v_fma_f64 v[142:143], v[10:11], v[108:109], v[157:158]
	v_fma_f64 v[74:75], v[20:21], v[120:121], v[159:160]
	v_fma_f64 v[76:77], v[52:53], v[120:121], -v[122:123]
	v_fma_f64 v[94:95], v[18:19], v[100:101], v[163:164]
	v_fma_f64 v[120:121], v[6:7], v[80:81], v[165:166]
	v_add_f64 v[136:137], v[14:15], -v[62:63]
	v_add_f64 v[114:115], v[30:31], v[66:67]
	v_add_f64 v[124:125], v[28:29], -v[46:47]
	v_add_f64 v[6:7], v[130:131], v[12:13]
	v_mul_f64 v[155:156], v[54:55], v[118:119]
	v_mul_f64 v[118:119], v[22:23], v[118:119]
	;; [unrolled: 1-line block ×3, first 2 shown]
	v_fma_f64 v[24:25], v[34:35], v[88:89], -v[90:91]
	v_fma_f64 v[144:145], v[42:43], v[108:109], -v[110:111]
	v_fma_f64 v[100:101], v[50:51], v[100:101], -v[102:103]
	v_fma_f64 v[108:109], v[16:17], v[84:85], v[167:168]
	v_add_f64 v[34:35], v[28:29], v[46:47]
	v_add_f64 v[4:5], v[28:29], v[4:5]
	v_mul_f64 v[10:11], v[138:139], s[4:5]
	v_mul_f64 v[163:164], v[138:139], s[8:9]
	v_add_f64 v[102:103], v[14:15], v[62:63]
	v_mul_f64 v[175:176], v[138:139], s[0:1]
	v_fma_f64 v[122:123], v[38:39], v[80:81], -v[82:83]
	v_add_f64 v[90:91], v[169:170], v[60:61]
	v_mul_f64 v[229:230], v[138:139], s[38:39]
	v_add_f64 v[106:107], v[147:148], -v[58:59]
	v_mul_f64 v[217:218], v[138:139], s[30:31]
	v_mul_f64 v[173:174], v[136:137], s[24:25]
	;; [unrolled: 1-line block ×5, first 2 shown]
	v_add_f64 v[6:7], v[14:15], v[6:7]
	v_fma_f64 v[54:55], v[54:55], v[116:117], -v[118:119]
	v_add_f64 v[118:119], v[169:170], -v[60:61]
	v_add_f64 v[104:105], v[24:25], -v[56:57]
	v_add_f64 v[82:83], v[24:25], v[56:57]
	v_mul_f64 v[181:182], v[124:125], s[36:37]
	v_fma_f64 v[64:65], v[22:23], v[116:117], v[155:156]
	v_fma_f64 v[110:111], v[48:49], v[84:85], -v[86:87]
	v_add_f64 v[4:5], v[26:27], v[4:5]
	v_add_f64 v[116:117], v[26:27], -v[32:33]
	v_add_f64 v[84:85], v[147:148], v[58:59]
	v_mul_f64 v[219:220], v[136:137], s[44:45]
	v_mul_f64 v[227:228], v[136:137], s[4:5]
	;; [unrolled: 1-line block ×4, first 2 shown]
	v_add_f64 v[92:93], v[26:27], v[32:33]
	v_mul_f64 v[223:224], v[124:125], s[44:45]
	v_mul_f64 v[26:27], v[136:137], s[0:1]
	v_fma_f64 v[247:248], v[34:35], s[26:27], v[173:174]
	v_fma_f64 v[173:174], v[34:35], s[26:27], -v[173:174]
	v_fma_f64 v[243:244], v[102:103], s[14:15], -v[16:17]
	v_fma_f64 v[16:17], v[102:103], s[14:15], v[16:17]
	v_add_f64 v[6:7], v[169:170], v[6:7]
	v_mul_f64 v[239:240], v[124:125], s[0:1]
	v_mul_f64 v[18:19], v[118:119], s[8:9]
	v_mov_b32_e32 v44, v185
	v_mul_f64 v[183:184], v[118:119], s[38:39]
	v_mov_b32_e32 v45, v186
	v_mul_f64 v[22:23], v[106:107], s[20:21]
	v_mul_f64 v[30:31], v[104:105], s[20:21]
	v_add_f64 v[4:5], v[24:25], v[4:5]
	v_fma_f64 v[24:25], v[102:103], s[26:27], -v[177:178]
	v_fma_f64 v[177:178], v[102:103], s[26:27], v[177:178]
	v_mul_f64 v[20:21], v[116:117], s[8:9]
	v_mul_f64 v[185:186], v[116:117], s[38:39]
	;; [unrolled: 1-line block ×4, first 2 shown]
	v_fma_f64 v[134:135], v[36:37], v[96:97], -v[98:99]
	v_add_f64 v[98:99], v[0:1], -v[64:65]
	v_add_f64 v[96:97], v[2:3], -v[54:55]
	v_add_f64 v[70:71], v[2:3], v[54:55]
	v_add_f64 v[72:73], v[0:1], v[64:65]
	v_mul_f64 v[191:192], v[106:107], s[48:49]
	v_mul_f64 v[193:194], v[104:105], s[48:49]
	v_add_f64 v[6:7], v[147:148], v[6:7]
	v_fma_f64 v[147:148], v[34:35], s[28:29], v[179:180]
	v_fma_f64 v[179:180], v[34:35], s[28:29], -v[179:180]
	v_mul_f64 v[197:198], v[104:105], s[8:9]
	v_mul_f64 v[195:196], v[106:107], s[8:9]
	v_add_f64 v[88:89], v[142:143], -v[74:75]
	v_add_f64 v[86:87], v[144:145], -v[76:77]
	v_add_f64 v[48:49], v[144:145], v[76:77]
	v_add_f64 v[251:252], v[2:3], v[4:5]
	;; [unrolled: 1-line block ×3, first 2 shown]
	v_add_f64 v[80:81], v[126:127], -v[94:95]
	v_add_f64 v[52:53], v[120:121], -v[108:109]
	v_add_f64 v[40:41], v[126:127], v[94:95]
	v_fma_f64 v[2:3], v[92:93], s[14:15], v[187:188]
	v_fma_f64 v[187:188], v[92:93], s[14:15], -v[187:188]
	v_add_f64 v[78:79], v[134:135], -v[100:101]
	v_mul_f64 v[149:150], v[98:99], s[0:1]
	v_mul_f64 v[151:152], v[96:97], s[0:1]
	;; [unrolled: 1-line block ×6, first 2 shown]
	v_add_f64 v[253:254], v[0:1], v[6:7]
	v_mul_f64 v[0:1], v[118:119], s[52:53]
	v_fma_f64 v[6:7], v[90:91], s[14:15], -v[189:190]
	v_fma_f64 v[189:190], v[90:91], s[14:15], v[189:190]
	v_add_f64 v[42:43], v[134:135], v[100:101]
	v_mul_f64 v[153:154], v[88:89], s[24:25]
	v_mul_f64 v[205:206], v[88:89], s[4:5]
	;; [unrolled: 1-line block ×6, first 2 shown]
	v_add_f64 v[38:39], v[122:123], v[110:111]
	v_add_f64 v[68:69], v[122:123], -v[110:111]
	v_mul_f64 v[211:212], v[80:81], s[20:21]
	v_add_f64 v[36:37], v[120:121], v[108:109]
	v_mul_f64 v[159:160], v[78:79], s[30:31]
	v_mul_f64 v[14:15], v[78:79], s[20:21]
	;; [unrolled: 1-line block ×3, first 2 shown]
	v_add_f64 v[144:145], v[144:145], v[251:252]
	v_add_f64 v[142:143], v[142:143], v[253:254]
	v_mul_f64 v[167:168], v[68:69], s[42:43]
	v_add_f64 v[134:135], v[134:135], v[144:145]
	v_add_f64 v[126:127], v[126:127], v[142:143]
	;; [unrolled: 1-line block ×6, first 2 shown]
	v_mul_f64 v[120:121], v[52:53], s[8:9]
	v_add_f64 v[100:101], v[100:101], v[110:111]
	v_mul_f64 v[110:111], v[98:99], s[44:45]
	v_add_f64 v[94:95], v[94:95], v[108:109]
	v_fma_f64 v[108:109], v[38:39], s[10:11], v[120:121]
	v_add_f64 v[76:77], v[76:77], v[100:101]
	v_fma_f64 v[100:101], v[70:71], s[10:11], -v[110:111]
	v_add_f64 v[74:75], v[74:75], v[94:95]
	v_add_f64 v[54:55], v[54:55], v[76:77]
	;; [unrolled: 1-line block ×6, first 2 shown]
	v_add_f64 v[140:141], v[12:13], -v[128:129]
	v_add_f64 v[112:113], v[12:13], v[128:129]
	v_mul_f64 v[12:13], v[136:137], s[18:19]
	v_mul_f64 v[8:9], v[140:141], s[4:5]
	;; [unrolled: 1-line block ×4, first 2 shown]
	v_fma_f64 v[221:222], v[112:113], s[6:7], -v[10:11]
	v_fma_f64 v[241:242], v[112:113], s[10:11], -v[163:164]
	v_mul_f64 v[215:216], v[140:141], s[30:31]
	v_mul_f64 v[225:226], v[140:141], s[38:39]
	v_fma_f64 v[10:11], v[112:113], s[6:7], v[10:11]
	v_fma_f64 v[169:170], v[34:35], s[14:15], v[12:13]
	;; [unrolled: 1-line block ×3, first 2 shown]
	v_fma_f64 v[249:250], v[112:113], s[22:23], -v[175:176]
	v_mul_f64 v[233:234], v[140:141], s[50:51]
	v_fma_f64 v[12:13], v[34:35], s[14:15], -v[12:13]
	v_fma_f64 v[175:176], v[112:113], s[22:23], v[175:176]
	v_fma_f64 v[213:214], v[114:115], s[6:7], v[8:9]
	;; [unrolled: 1-line block ×3, first 2 shown]
	v_fma_f64 v[161:162], v[114:115], s[10:11], -v[161:162]
	v_fma_f64 v[8:9], v[114:115], s[6:7], -v[8:9]
	v_add_f64 v[221:222], v[130:131], v[221:222]
	v_fma_f64 v[245:246], v[114:115], s[22:23], v[171:172]
	v_fma_f64 v[171:172], v[114:115], s[22:23], -v[171:172]
	v_add_f64 v[241:242], v[130:131], v[241:242]
	v_add_f64 v[10:11], v[130:131], v[10:11]
	;; [unrolled: 1-line block ×10, first 2 shown]
	v_fma_f64 v[243:244], v[114:115], s[28:29], v[215:216]
	v_add_f64 v[245:246], v[132:133], v[245:246]
	v_add_f64 v[171:172], v[132:133], v[171:172]
	;; [unrolled: 1-line block ×3, first 2 shown]
	v_fma_f64 v[241:242], v[114:115], s[34:35], v[225:226]
	v_fma_f64 v[225:226], v[114:115], s[34:35], -v[225:226]
	v_fma_f64 v[215:216], v[114:115], s[28:29], -v[215:216]
	v_add_f64 v[10:11], v[16:17], v[10:11]
	v_fma_f64 v[16:17], v[34:35], s[10:11], v[219:220]
	v_add_f64 v[163:164], v[177:178], v[163:164]
	v_fma_f64 v[177:178], v[114:115], s[26:27], v[233:234]
	v_fma_f64 v[233:234], v[114:115], s[26:27], -v[233:234]
	v_fma_f64 v[219:220], v[34:35], s[10:11], -v[219:220]
	v_add_f64 v[169:170], v[169:170], v[213:214]
	v_fma_f64 v[213:214], v[102:103], s[28:29], -v[181:182]
	v_add_f64 v[161:162], v[173:174], v[161:162]
	v_fma_f64 v[173:174], v[112:113], s[34:35], -v[229:230]
	v_fma_f64 v[229:230], v[112:113], s[34:35], v[229:230]
	v_fma_f64 v[181:182], v[102:103], s[28:29], v[181:182]
	v_add_f64 v[8:9], v[12:13], v[8:9]
	v_fma_f64 v[12:13], v[112:113], s[28:29], -v[217:218]
	v_add_f64 v[243:244], v[132:133], v[243:244]
	v_add_f64 v[147:148], v[147:148], v[245:246]
	v_fma_f64 v[245:246], v[112:113], s[26:27], -v[237:238]
	v_fma_f64 v[237:238], v[112:113], s[26:27], v[237:238]
	v_add_f64 v[171:172], v[179:180], v[171:172]
	v_fma_f64 v[179:180], v[102:103], s[6:7], -v[231:232]
	v_add_f64 v[241:242], v[132:133], v[241:242]
	v_fma_f64 v[231:232], v[102:103], s[6:7], v[231:232]
	v_add_f64 v[225:226], v[132:133], v[225:226]
	v_add_f64 v[235:236], v[247:248], v[235:236]
	v_fma_f64 v[247:248], v[102:103], s[10:11], -v[223:224]
	v_add_f64 v[215:216], v[132:133], v[215:216]
	v_add_f64 v[177:178], v[132:133], v[177:178]
	v_add_f64 v[233:234], v[132:133], v[233:234]
	v_fma_f64 v[217:218], v[112:113], s[28:29], v[217:218]
	v_add_f64 v[213:214], v[213:214], v[249:250]
	v_fma_f64 v[249:250], v[34:35], s[6:7], v[227:228]
	v_fma_f64 v[227:228], v[34:35], s[6:7], -v[227:228]
	v_add_f64 v[173:174], v[130:131], v[173:174]
	v_add_f64 v[229:230], v[130:131], v[229:230]
	;; [unrolled: 1-line block ×4, first 2 shown]
	v_fma_f64 v[181:182], v[34:35], s[22:23], v[26:27]
	v_add_f64 v[16:17], v[16:17], v[243:244]
	v_fma_f64 v[243:244], v[102:103], s[22:23], -v[239:240]
	v_fma_f64 v[26:27], v[34:35], s[22:23], -v[26:27]
	v_add_f64 v[245:246], v[130:131], v[245:246]
	v_fma_f64 v[239:240], v[102:103], s[22:23], v[239:240]
	v_add_f64 v[237:238], v[130:131], v[237:238]
	v_fma_f64 v[223:224], v[102:103], s[10:11], v[223:224]
	;; [unrolled: 2-line block ×3, first 2 shown]
	v_add_f64 v[2:3], v[2:3], v[147:148]
	v_add_f64 v[215:216], v[219:220], v[215:216]
	v_mul_f64 v[147:148], v[52:53], s[24:25]
	v_fma_f64 v[0:1], v[92:93], s[6:7], -v[0:1]
	v_add_f64 v[217:218], v[130:131], v[217:218]
	v_add_f64 v[6:7], v[6:7], v[213:214]
	;; [unrolled: 1-line block ×3, first 2 shown]
	v_fma_f64 v[249:250], v[92:93], s[10:11], v[18:19]
	v_add_f64 v[173:174], v[179:180], v[173:174]
	v_fma_f64 v[179:180], v[90:91], s[10:11], -v[20:21]
	v_add_f64 v[225:226], v[227:228], v[225:226]
	v_mul_f64 v[227:228], v[118:119], s[20:21]
	v_add_f64 v[229:230], v[231:232], v[229:230]
	v_mul_f64 v[231:232], v[116:117], s[20:21]
	v_fma_f64 v[18:19], v[92:93], s[10:11], -v[18:19]
	v_fma_f64 v[20:21], v[90:91], s[10:11], v[20:21]
	v_add_f64 v[12:13], v[247:248], v[12:13]
	v_add_f64 v[177:178], v[181:182], v[177:178]
	v_fma_f64 v[181:182], v[92:93], s[34:35], v[183:184]
	v_add_f64 v[243:244], v[243:244], v[245:246]
	v_mul_f64 v[245:246], v[118:119], s[36:37]
	v_add_f64 v[233:234], v[26:27], v[233:234]
	v_fma_f64 v[26:27], v[90:91], s[34:35], -v[185:186]
	v_add_f64 v[237:238], v[239:240], v[237:238]
	v_mul_f64 v[239:240], v[116:117], s[36:37]
	v_fma_f64 v[183:184], v[92:93], s[34:35], -v[183:184]
	v_fma_f64 v[185:186], v[90:91], s[34:35], v[185:186]
	v_add_f64 v[217:218], v[223:224], v[217:218]
	v_add_f64 v[175:176], v[189:190], v[175:176]
	;; [unrolled: 1-line block ×3, first 2 shown]
	v_mul_f64 v[247:248], v[86:87], s[46:47]
	v_add_f64 v[169:170], v[179:180], v[221:222]
	v_mul_f64 v[179:180], v[116:117], s[52:53]
	v_mul_f64 v[221:222], v[80:81], s[4:5]
	;; [unrolled: 1-line block ×4, first 2 shown]
	v_add_f64 v[8:9], v[18:19], v[8:9]
	v_fma_f64 v[18:19], v[92:93], s[16:17], v[227:228]
	v_add_f64 v[10:11], v[20:21], v[10:11]
	v_fma_f64 v[20:21], v[90:91], s[16:17], -v[231:232]
	v_fma_f64 v[227:228], v[92:93], s[16:17], -v[227:228]
	v_add_f64 v[181:182], v[181:182], v[235:236]
	v_fma_f64 v[235:236], v[92:93], s[28:29], -v[245:246]
	v_fma_f64 v[231:232], v[90:91], s[16:17], v[231:232]
	v_add_f64 v[24:25], v[26:27], v[24:25]
	v_add_f64 v[177:178], v[187:188], v[177:178]
	v_fma_f64 v[187:188], v[82:83], s[10:11], v[195:196]
	v_add_f64 v[161:162], v[183:184], v[161:162]
	v_fma_f64 v[183:184], v[92:93], s[28:29], v[245:246]
	v_add_f64 v[163:164], v[185:186], v[163:164]
	v_fma_f64 v[185:186], v[90:91], s[28:29], -v[239:240]
	v_fma_f64 v[239:240], v[90:91], s[28:29], v[239:240]
	v_fma_f64 v[195:196], v[82:83], s[10:11], -v[195:196]
	v_mul_f64 v[26:27], v[78:79], s[4:5]
	v_fma_f64 v[189:190], v[90:91], s[6:7], -v[179:180]
	v_fma_f64 v[245:246], v[50:51], s[16:17], v[247:248]
	v_add_f64 v[0:1], v[0:1], v[233:234]
	v_fma_f64 v[179:180], v[90:91], s[6:7], v[179:180]
	v_mul_f64 v[213:214], v[68:69], s[24:25]
	v_add_f64 v[16:17], v[18:19], v[16:17]
	v_fma_f64 v[18:19], v[82:83], s[16:17], v[22:23]
	v_add_f64 v[12:13], v[20:21], v[12:13]
	v_fma_f64 v[20:21], v[84:85], s[16:17], -v[30:31]
	v_add_f64 v[215:216], v[227:228], v[215:216]
	v_mul_f64 v[227:228], v[106:107], s[50:51]
	v_fma_f64 v[22:23], v[82:83], s[16:17], -v[22:23]
	v_add_f64 v[225:226], v[235:236], v[225:226]
	v_fma_f64 v[235:236], v[84:85], s[22:23], -v[193:194]
	v_fma_f64 v[193:194], v[84:85], s[22:23], v[193:194]
	v_add_f64 v[217:218], v[231:232], v[217:218]
	v_add_f64 v[183:184], v[183:184], v[241:242]
	v_fma_f64 v[241:242], v[82:83], s[22:23], v[191:192]
	v_add_f64 v[173:174], v[185:186], v[173:174]
	v_mul_f64 v[185:186], v[106:107], s[18:19]
	v_add_f64 v[229:230], v[239:240], v[229:230]
	v_mul_f64 v[239:240], v[104:105], s[18:19]
	v_fma_f64 v[191:192], v[82:83], s[22:23], -v[191:192]
	v_mul_f64 v[231:232], v[104:105], s[50:51]
	v_fma_f64 v[30:31], v[84:85], s[16:17], v[30:31]
	v_add_f64 v[189:190], v[189:190], v[243:244]
	v_mul_f64 v[243:244], v[106:107], s[36:37]
	v_add_f64 v[171:172], v[195:196], v[171:172]
	v_add_f64 v[4:5], v[18:19], v[4:5]
	v_fma_f64 v[18:19], v[84:85], s[10:11], -v[197:198]
	v_add_f64 v[20:21], v[20:21], v[169:170]
	v_mul_f64 v[169:170], v[104:105], s[36:37]
	v_fma_f64 v[197:198], v[84:85], s[10:11], v[197:198]
	v_add_f64 v[8:9], v[22:23], v[8:9]
	v_fma_f64 v[22:23], v[82:83], s[26:27], v[227:228]
	v_fma_f64 v[227:228], v[82:83], s[26:27], -v[227:228]
	v_add_f64 v[163:164], v[193:194], v[163:164]
	v_add_f64 v[24:25], v[235:236], v[24:25]
	v_mul_f64 v[235:236], v[96:97], s[4:5]
	v_add_f64 v[181:182], v[241:242], v[181:182]
	v_mul_f64 v[241:242], v[98:99], s[4:5]
	;; [unrolled: 2-line block ×3, first 2 shown]
	v_fma_f64 v[193:194], v[84:85], s[14:15], -v[239:240]
	v_add_f64 v[161:162], v[191:192], v[161:162]
	v_fma_f64 v[191:192], v[82:83], s[14:15], v[185:186]
	v_fma_f64 v[185:186], v[82:83], s[14:15], -v[185:186]
	v_fma_f64 v[239:240], v[84:85], s[14:15], v[239:240]
	v_add_f64 v[10:11], v[30:31], v[10:11]
	v_fma_f64 v[30:31], v[84:85], s[26:27], -v[231:232]
	v_fma_f64 v[231:232], v[84:85], s[26:27], v[231:232]
	v_fma_f64 v[195:196], v[82:83], s[28:29], v[243:244]
	v_add_f64 v[6:7], v[18:19], v[6:7]
	v_mul_f64 v[18:19], v[86:87], s[42:43]
	v_add_f64 v[175:176], v[197:198], v[175:176]
	v_fma_f64 v[197:198], v[84:85], s[28:29], -v[169:170]
	v_add_f64 v[16:17], v[22:23], v[16:17]
	v_fma_f64 v[22:23], v[70:71], s[22:23], v[149:150]
	v_fma_f64 v[149:150], v[70:71], s[22:23], -v[149:150]
	v_add_f64 v[215:216], v[227:228], v[215:216]
	v_fma_f64 v[227:228], v[72:73], s[22:23], -v[151:152]
	v_fma_f64 v[151:152], v[72:73], s[22:23], v[151:152]
	v_add_f64 v[173:174], v[193:194], v[173:174]
	v_mul_f64 v[193:194], v[52:53], s[0:1]
	v_add_f64 v[183:184], v[191:192], v[183:184]
	v_fma_f64 v[191:192], v[70:71], s[14:15], v[199:200]
	v_add_f64 v[185:186], v[185:186], v[225:226]
	v_fma_f64 v[225:226], v[72:73], s[14:15], -v[201:202]
	v_add_f64 v[229:230], v[239:240], v[229:230]
	v_mul_f64 v[239:240], v[98:99], s[50:51]
	v_fma_f64 v[199:200], v[70:71], s[14:15], -v[199:200]
	v_fma_f64 v[201:202], v[72:73], s[14:15], v[201:202]
	v_add_f64 v[217:218], v[231:232], v[217:218]
	v_add_f64 v[177:178], v[195:196], v[177:178]
	;; [unrolled: 1-line block ×3, first 2 shown]
	v_fma_f64 v[197:198], v[72:73], s[34:35], -v[203:204]
	v_fma_f64 v[203:204], v[72:73], s[34:35], v[203:204]
	v_add_f64 v[8:9], v[149:150], v[8:9]
	v_fma_f64 v[149:150], v[70:71], s[6:7], v[241:242]
	v_fma_f64 v[195:196], v[70:71], s[34:35], v[28:29]
	v_add_f64 v[4:5], v[22:23], v[4:5]
	v_add_f64 v[10:11], v[151:152], v[10:11]
	v_fma_f64 v[151:152], v[72:73], s[6:7], -v[235:236]
	v_fma_f64 v[241:242], v[70:71], s[6:7], -v[241:242]
	v_fma_f64 v[235:236], v[72:73], s[6:7], v[235:236]
	v_add_f64 v[12:13], v[30:31], v[12:13]
	v_fma_f64 v[28:29], v[70:71], s[34:35], -v[28:29]
	v_add_f64 v[181:182], v[191:192], v[181:182]
	v_mul_f64 v[30:31], v[80:81], s[40:41]
	v_add_f64 v[24:25], v[225:226], v[24:25]
	v_mul_f64 v[225:226], v[96:97], s[20:21]
	v_mul_f64 v[231:232], v[78:79], s[40:41]
	v_add_f64 v[161:162], v[199:200], v[161:162]
	v_fma_f64 v[199:200], v[70:71], s[26:27], v[239:240]
	v_add_f64 v[163:164], v[201:202], v[163:164]
	v_fma_f64 v[201:202], v[48:49], s[26:27], v[153:154]
	v_fma_f64 v[153:154], v[48:49], s[26:27], -v[153:154]
	v_add_f64 v[6:7], v[197:198], v[6:7]
	v_add_f64 v[175:176], v[203:204], v[175:176]
	v_fma_f64 v[203:204], v[48:49], s[6:7], v[205:206]
	v_add_f64 v[16:17], v[149:150], v[16:17]
	v_fma_f64 v[149:150], v[50:51], s[6:7], -v[207:208]
	v_add_f64 v[2:3], v[195:196], v[2:3]
	v_fma_f64 v[205:206], v[48:49], s[6:7], -v[205:206]
	v_fma_f64 v[195:196], v[50:51], s[26:27], -v[155:156]
	v_add_f64 v[215:216], v[241:242], v[215:216]
	v_add_f64 v[217:218], v[235:236], v[217:218]
	v_fma_f64 v[155:156], v[50:51], s[26:27], v[155:156]
	v_fma_f64 v[207:208], v[50:51], s[6:7], v[207:208]
	v_mul_f64 v[197:198], v[88:89], s[8:9]
	v_add_f64 v[20:21], v[227:228], v[20:21]
	v_add_f64 v[28:29], v[28:29], v[171:172]
	;; [unrolled: 1-line block ×3, first 2 shown]
	v_mul_f64 v[22:23], v[68:69], s[0:1]
	v_mul_f64 v[227:228], v[96:97], s[50:51]
	v_add_f64 v[183:184], v[199:200], v[183:184]
	v_fma_f64 v[199:200], v[48:49], s[16:17], v[209:210]
	v_add_f64 v[4:5], v[201:202], v[4:5]
	v_fma_f64 v[201:202], v[50:51], s[16:17], -v[247:248]
	v_add_f64 v[8:9], v[153:154], v[8:9]
	v_fma_f64 v[209:210], v[48:49], s[16:17], -v[209:210]
	v_add_f64 v[181:182], v[203:204], v[181:182]
	v_fma_f64 v[203:204], v[48:49], s[34:35], v[187:188]
	v_add_f64 v[24:25], v[149:150], v[24:25]
	v_fma_f64 v[149:150], v[50:51], s[34:35], -v[18:19]
	v_fma_f64 v[187:188], v[48:49], s[34:35], -v[187:188]
	v_fma_f64 v[18:19], v[50:51], s[34:35], v[18:19]
	v_add_f64 v[161:162], v[205:206], v[161:162]
	v_fma_f64 v[205:206], v[42:43], s[28:29], v[157:158]
	v_add_f64 v[10:11], v[155:156], v[10:11]
	v_add_f64 v[163:164], v[207:208], v[163:164]
	v_fma_f64 v[207:208], v[40:41], s[28:29], -v[159:160]
	v_fma_f64 v[157:158], v[42:43], s[28:29], -v[157:158]
	v_fma_f64 v[159:160], v[40:41], s[28:29], v[159:160]
	v_mul_f64 v[191:192], v[98:99], s[20:21]
	v_add_f64 v[20:21], v[195:196], v[20:21]
	v_add_f64 v[175:176], v[245:246], v[175:176]
	v_fma_f64 v[245:246], v[40:41], s[16:17], -v[14:15]
	v_add_f64 v[2:3], v[199:200], v[2:3]
	v_fma_f64 v[14:15], v[40:41], s[16:17], v[14:15]
	v_add_f64 v[6:7], v[201:202], v[6:7]
	v_mul_f64 v[171:172], v[86:87], s[8:9]
	v_add_f64 v[28:29], v[209:210], v[28:29]
	v_fma_f64 v[209:210], v[42:43], s[16:17], v[211:212]
	v_fma_f64 v[211:212], v[42:43], s[16:17], -v[211:212]
	v_add_f64 v[16:17], v[203:204], v[16:17]
	v_add_f64 v[12:13], v[149:150], v[12:13]
	;; [unrolled: 1-line block ×3, first 2 shown]
	v_fma_f64 v[215:216], v[42:43], s[6:7], v[221:222]
	v_add_f64 v[18:19], v[18:19], v[217:218]
	v_fma_f64 v[217:218], v[40:41], s[6:7], -v[26:27]
	v_add_f64 v[4:5], v[205:206], v[4:5]
	v_fma_f64 v[205:206], v[38:39], s[26:27], v[147:148]
	v_fma_f64 v[221:222], v[42:43], s[6:7], -v[221:222]
	v_add_f64 v[8:9], v[157:158], v[8:9]
	v_fma_f64 v[157:158], v[42:43], s[14:15], v[30:31]
	v_add_f64 v[10:11], v[159:160], v[10:11]
	v_fma_f64 v[159:160], v[40:41], s[14:15], -v[231:232]
	v_mul_f64 v[241:242], v[86:87], s[40:41]
	v_mul_f64 v[153:154], v[140:141], s[46:47]
	v_fma_f64 v[199:200], v[38:39], s[34:35], v[165:166]
	v_fma_f64 v[201:202], v[36:37], s[34:35], -v[167:168]
	v_fma_f64 v[165:166], v[38:39], s[34:35], -v[165:166]
	v_fma_f64 v[203:204], v[38:39], s[28:29], v[219:220]
	v_fma_f64 v[149:150], v[36:37], s[28:29], -v[223:224]
	v_fma_f64 v[26:27], v[40:41], s[6:7], v[26:27]
	;; [unrolled: 2-line block ×3, first 2 shown]
	v_add_f64 v[20:21], v[207:208], v[20:21]
	v_fma_f64 v[147:148], v[38:39], s[26:27], -v[147:148]
	v_add_f64 v[2:3], v[215:216], v[2:3]
	v_fma_f64 v[215:216], v[72:73], s[16:17], -v[225:226]
	v_add_f64 v[217:218], v[217:218], v[6:7]
	v_fma_f64 v[6:7], v[48:49], s[10:11], v[197:198]
	v_fma_f64 v[30:31], v[42:43], s[14:15], -v[30:31]
	v_fma_f64 v[231:232], v[40:41], s[14:15], v[231:232]
	v_add_f64 v[181:182], v[209:210], v[181:182]
	v_fma_f64 v[209:210], v[38:39], s[22:23], v[193:194]
	v_add_f64 v[24:25], v[245:246], v[24:25]
	v_fma_f64 v[245:246], v[36:37], s[22:23], -v[22:23]
	v_add_f64 v[161:162], v[211:212], v[161:162]
	v_fma_f64 v[211:212], v[72:73], s[26:27], -v[227:228]
	v_fma_f64 v[239:240], v[70:71], s[26:27], -v[239:240]
	v_add_f64 v[163:164], v[14:15], v[163:164]
	v_fma_f64 v[14:15], v[70:71], s[16:17], v[191:192]
	v_add_f64 v[28:29], v[221:222], v[28:29]
	v_add_f64 v[157:158], v[157:158], v[16:17]
	;; [unrolled: 1-line block ×3, first 2 shown]
	v_mul_f64 v[151:152], v[88:89], s[40:41]
	v_mul_f64 v[235:236], v[80:81], s[48:49]
	;; [unrolled: 1-line block ×3, first 2 shown]
	v_fma_f64 v[167:168], v[36:37], s[34:35], v[167:168]
	v_fma_f64 v[227:228], v[72:73], s[26:27], v[227:228]
	v_add_f64 v[189:190], v[215:216], v[189:190]
	v_fma_f64 v[247:248], v[36:37], s[22:23], v[22:23]
	v_add_f64 v[215:216], v[6:7], v[183:184]
	v_add_f64 v[6:7], v[205:206], v[2:3]
	v_fma_f64 v[2:3], v[82:83], s[28:29], -v[243:244]
	v_fma_f64 v[221:222], v[50:51], s[10:11], -v[171:172]
	;; [unrolled: 1-line block ×3, first 2 shown]
	v_add_f64 v[175:176], v[26:27], v[175:176]
	v_fma_f64 v[128:129], v[50:51], s[14:15], -v[241:242]
	v_add_f64 v[30:31], v[30:31], v[187:188]
	v_add_f64 v[173:174], v[211:212], v[173:174]
	;; [unrolled: 1-line block ×14, first 2 shown]
	v_fma_f64 v[159:160], v[84:85], s[28:29], v[169:170]
	v_mul_f64 v[161:162], v[136:137], s[38:39]
	v_fma_f64 v[163:164], v[114:115], s[16:17], v[153:154]
	v_add_f64 v[0:1], v[2:3], v[0:1]
	v_fma_f64 v[2:3], v[70:71], s[16:17], -v[191:192]
	v_fma_f64 v[193:194], v[38:39], s[22:23], -v[193:194]
	v_fma_f64 v[249:250], v[48:49], s[14:15], v[151:152]
	v_fma_f64 v[12:13], v[42:43], s[22:23], v[235:236]
	v_add_f64 v[16:17], v[167:168], v[10:11]
	v_mul_f64 v[167:168], v[124:125], s[38:39]
	v_fma_f64 v[169:170], v[112:113], s[16:17], -v[155:156]
	v_mul_f64 v[140:141], v[140:141], s[40:41]
	v_mul_f64 v[195:196], v[78:79], s[48:49]
	v_fma_f64 v[171:172], v[50:51], s[10:11], v[171:172]
	v_add_f64 v[211:212], v[227:228], v[229:230]
	v_add_f64 v[28:29], v[247:248], v[177:178]
	;; [unrolled: 1-line block ×4, first 2 shown]
	v_fma_f64 v[177:178], v[42:43], s[22:23], -v[235:236]
	v_add_f64 v[128:129], v[128:129], v[189:190]
	v_mul_f64 v[138:139], v[138:139], s[40:41]
	v_mul_f64 v[189:190], v[118:119], s[0:1]
	v_add_f64 v[157:158], v[159:160], v[157:158]
	v_fma_f64 v[159:160], v[72:73], s[16:17], v[225:226]
	v_fma_f64 v[187:188], v[34:35], s[34:35], v[161:162]
	v_add_f64 v[163:164], v[132:133], v[163:164]
	v_add_f64 v[0:1], v[2:3], v[0:1]
	v_fma_f64 v[2:3], v[48:49], s[14:15], -v[151:152]
	v_mul_f64 v[151:152], v[52:53], s[20:21]
	v_add_f64 v[30:31], v[193:194], v[30:31]
	v_add_f64 v[12:13], v[12:13], v[215:216]
	v_fma_f64 v[191:192], v[102:103], s[34:35], -v[167:168]
	v_add_f64 v[169:170], v[130:131], v[169:170]
	v_mul_f64 v[193:194], v[116:117], s[0:1]
	v_fma_f64 v[153:154], v[114:115], s[16:17], -v[153:154]
	v_fma_f64 v[155:156], v[112:113], s[16:17], v[155:156]
	v_mul_f64 v[136:137], v[136:137], s[46:47]
	v_fma_f64 v[142:143], v[114:115], s[14:15], v[140:141]
	v_fma_f64 v[114:115], v[114:115], s[14:15], -v[140:141]
	v_add_f64 v[171:172], v[171:172], v[211:212]
	v_add_f64 v[144:145], v[177:178], v[173:174]
	v_fma_f64 v[173:174], v[40:41], s[22:23], v[195:196]
	v_mul_f64 v[124:125], v[124:125], s[46:47]
	v_fma_f64 v[177:178], v[112:113], s[14:15], -v[138:139]
	v_fma_f64 v[112:113], v[112:113], s[14:15], v[138:139]
	v_add_f64 v[157:158], v[159:160], v[157:158]
	v_fma_f64 v[161:162], v[34:35], s[34:35], -v[161:162]
	v_add_f64 v[159:160], v[187:188], v[163:164]
	v_fma_f64 v[163:164], v[50:51], s[14:15], v[241:242]
	v_add_f64 v[0:1], v[2:3], v[0:1]
	v_fma_f64 v[2:3], v[38:39], s[16:17], v[151:152]
	v_fma_f64 v[187:188], v[92:93], s[22:23], v[189:190]
	;; [unrolled: 1-line block ×3, first 2 shown]
	v_mul_f64 v[118:119], v[118:119], s[50:51]
	v_add_f64 v[169:170], v[191:192], v[169:170]
	v_fma_f64 v[191:192], v[90:91], s[22:23], -v[193:194]
	v_add_f64 v[153:154], v[132:133], v[153:154]
	v_add_f64 v[155:156], v[130:131], v[155:156]
	v_fma_f64 v[126:127], v[34:35], s[16:17], v[136:137]
	v_add_f64 v[142:143], v[132:133], v[142:143]
	v_fma_f64 v[136:137], v[34:35], s[16:17], -v[136:137]
	v_mul_f64 v[116:117], v[116:117], s[50:51]
	v_fma_f64 v[207:208], v[36:37], s[26:27], -v[213:214]
	v_add_f64 v[167:168], v[173:174], v[171:172]
	v_fma_f64 v[171:172], v[102:103], s[16:17], -v[124:125]
	v_fma_f64 v[102:103], v[102:103], s[16:17], v[124:125]
	v_add_f64 v[112:113], v[130:131], v[112:113]
	v_fma_f64 v[213:214], v[36:37], s[26:27], v[213:214]
	v_add_f64 v[173:174], v[130:131], v[177:178]
	v_mul_f64 v[138:139], v[68:69], s[20:21]
	v_add_f64 v[140:141], v[163:164], v[157:158]
	v_mul_f64 v[179:180], v[80:81], s[38:39]
	v_add_f64 v[34:35], v[2:3], v[12:13]
	v_add_f64 v[2:3], v[132:133], v[114:115]
	;; [unrolled: 1-line block ×3, first 2 shown]
	v_mul_f64 v[159:160], v[106:107], s[4:5]
	v_mul_f64 v[106:107], v[106:107], s[38:39]
	v_add_f64 v[163:164], v[191:192], v[169:170]
	v_add_f64 v[122:123], v[161:162], v[153:154]
	v_add_f64 v[134:135], v[134:135], v[155:156]
	v_mul_f64 v[153:154], v[104:105], s[4:5]
	v_add_f64 v[126:127], v[126:127], v[142:143]
	v_fma_f64 v[142:143], v[92:93], s[22:23], -v[189:190]
	v_fma_f64 v[155:156], v[90:91], s[22:23], v[193:194]
	v_fma_f64 v[169:170], v[92:93], s[26:27], v[118:119]
	v_fma_f64 v[92:93], v[92:93], s[26:27], -v[118:119]
	v_fma_f64 v[12:13], v[90:91], s[26:27], -v[116:117]
	v_mul_f64 v[104:105], v[104:105], s[38:39]
	v_fma_f64 v[90:91], v[90:91], s[26:27], v[116:117]
	v_add_f64 v[102:103], v[102:103], v[112:113]
	v_add_f64 v[24:25], v[213:214], v[175:176]
	v_fma_f64 v[175:176], v[40:41], s[22:23], -v[195:196]
	v_add_f64 v[161:162], v[171:172], v[173:174]
	v_fma_f64 v[124:125], v[36:37], s[16:17], -v[138:139]
	v_fma_f64 v[132:133], v[36:37], s[16:17], v[138:139]
	v_add_f64 v[2:3], v[136:137], v[2:3]
	v_mul_f64 v[138:139], v[96:97], s[44:45]
	v_fma_f64 v[114:115], v[82:83], s[6:7], v[159:160]
	v_mul_f64 v[98:99], v[98:99], s[30:31]
	v_mul_f64 v[96:97], v[96:97], s[30:31]
	v_add_f64 v[14:15], v[249:250], v[14:15]
	v_mul_f64 v[118:119], v[88:89], s[36:37]
	v_fma_f64 v[136:137], v[70:71], s[10:11], v[110:111]
	v_mul_f64 v[116:117], v[86:87], s[36:37]
	v_add_f64 v[122:123], v[142:143], v[122:123]
	v_add_f64 v[134:135], v[155:156], v[134:135]
	v_fma_f64 v[142:143], v[84:85], s[6:7], -v[153:154]
	v_fma_f64 v[155:156], v[82:83], s[6:7], -v[159:160]
	v_fma_f64 v[153:154], v[84:85], s[6:7], v[153:154]
	v_fma_f64 v[159:160], v[82:83], s[34:35], v[106:107]
	v_fma_f64 v[82:83], v[82:83], s[34:35], -v[106:107]
	v_add_f64 v[90:91], v[90:91], v[102:103]
	v_add_f64 v[126:127], v[169:170], v[126:127]
	;; [unrolled: 1-line block ×3, first 2 shown]
	v_fma_f64 v[175:176], v[42:43], s[34:35], v[179:180]
	v_add_f64 v[12:13], v[12:13], v[161:162]
	v_mul_f64 v[88:89], v[88:89], s[0:1]
	v_add_f64 v[2:3], v[92:93], v[2:3]
	v_fma_f64 v[112:113], v[72:73], s[10:11], -v[138:139]
	v_add_f64 v[114:115], v[114:115], v[157:158]
	v_fma_f64 v[157:158], v[84:85], s[34:35], -v[104:105]
	v_fma_f64 v[84:85], v[84:85], s[34:35], v[104:105]
	v_fma_f64 v[161:162], v[42:43], s[34:35], -v[179:180]
	v_mul_f64 v[86:87], v[86:87], s[0:1]
	v_fma_f64 v[76:77], v[48:49], s[28:29], -v[118:119]
	v_mul_f64 v[171:172], v[68:69], s[8:9]
	v_fma_f64 v[130:131], v[38:39], s[16:17], -v[151:152]
	v_add_f64 v[10:11], v[203:204], v[181:182]
	v_add_f64 v[94:95], v[142:143], v[163:164]
	;; [unrolled: 1-line block ×3, first 2 shown]
	v_fma_f64 v[122:123], v[72:73], s[10:11], v[138:139]
	v_add_f64 v[134:135], v[153:154], v[134:135]
	v_fma_f64 v[138:139], v[70:71], s[28:29], v[98:99]
	v_fma_f64 v[70:71], v[70:71], s[28:29], -v[98:99]
	v_fma_f64 v[142:143], v[72:73], s[28:29], -v[96:97]
	v_fma_f64 v[72:73], v[72:73], s[28:29], v[96:97]
	v_add_f64 v[14:15], v[175:176], v[14:15]
	v_add_f64 v[126:127], v[159:160], v[126:127]
	v_mul_f64 v[153:154], v[80:81], s[24:25]
	v_add_f64 v[2:3], v[82:83], v[2:3]
	v_mul_f64 v[80:81], v[80:81], s[8:9]
	v_fma_f64 v[102:103], v[48:49], s[22:23], v[88:89]
	v_add_f64 v[12:13], v[157:158], v[12:13]
	v_add_f64 v[82:83], v[84:85], v[90:91]
	v_fma_f64 v[157:158], v[50:51], s[28:29], -v[116:117]
	v_fma_f64 v[88:89], v[48:49], s[22:23], -v[88:89]
	;; [unrolled: 1-line block ×3, first 2 shown]
	v_add_f64 v[0:1], v[161:162], v[0:1]
	v_fma_f64 v[106:107], v[50:51], s[22:23], -v[86:87]
	v_mul_f64 v[90:91], v[52:53], s[4:5]
	v_add_f64 v[74:75], v[112:113], v[94:95]
	v_add_f64 v[92:93], v[100:101], v[110:111]
	v_fma_f64 v[94:95], v[50:51], s[28:29], v[116:117]
	v_add_f64 v[100:101], v[122:123], v[134:135]
	v_mul_f64 v[110:111], v[52:53], s[18:19]
	v_mul_f64 v[116:117], v[68:69], s[18:19]
	v_fma_f64 v[151:152], v[36:37], s[10:11], -v[171:172]
	v_fma_f64 v[98:99], v[36:37], s[10:11], v[171:172]
	v_fma_f64 v[155:156], v[48:49], s[28:29], v[118:119]
	v_add_f64 v[104:105], v[138:139], v[126:127]
	v_fma_f64 v[64:65], v[42:43], s[26:27], -v[153:154]
	v_add_f64 v[2:3], v[70:71], v[2:3]
	v_fma_f64 v[112:113], v[42:43], s[26:27], v[153:154]
	v_fma_f64 v[52:53], v[42:43], s[10:11], v[80:81]
	v_add_f64 v[12:13], v[142:143], v[12:13]
	v_add_f64 v[72:73], v[72:73], v[82:83]
	;; [unrolled: 1-line block ×4, first 2 shown]
	v_fma_f64 v[14:15], v[42:43], s[10:11], -v[80:81]
	v_add_f64 v[42:43], v[96:97], v[0:1]
	v_fma_f64 v[70:71], v[50:51], s[22:23], v[86:87]
	v_add_f64 v[114:115], v[136:137], v[114:115]
	v_add_f64 v[58:59], v[157:158], v[74:75]
	;; [unrolled: 1-line block ×3, first 2 shown]
	v_mul_f64 v[136:137], v[78:79], s[24:25]
	v_add_f64 v[84:85], v[94:95], v[100:101]
	v_mul_f64 v[94:95], v[68:69], s[4:5]
	v_fma_f64 v[86:87], v[36:37], s[14:15], -v[116:117]
	v_mul_f64 v[181:182], v[78:79], s[38:39]
	v_mul_f64 v[78:79], v[78:79], s[8:9]
	v_add_f64 v[80:81], v[62:63], v[56:57]
	v_add_f64 v[92:93], v[102:103], v[104:105]
	v_fma_f64 v[102:103], v[38:39], s[14:15], v[110:111]
	v_add_f64 v[2:3], v[88:89], v[2:3]
	v_add_f64 v[185:186], v[199:200], v[4:5]
	;; [unrolled: 1-line block ×4, first 2 shown]
	v_fma_f64 v[106:107], v[38:39], s[14:15], -v[110:111]
	v_add_f64 v[46:47], v[46:47], v[82:83]
	v_mad_u64_u32 v[82:83], null, s2, v146, 0
	v_add_f64 v[50:51], v[130:131], v[144:145]
	v_add_f64 v[72:73], v[70:71], v[72:73]
	;; [unrolled: 1-line block ×5, first 2 shown]
	v_fma_f64 v[74:75], v[36:37], s[14:15], v[116:117]
	v_mov_b32_e32 v0, v83
	v_fma_f64 v[110:111], v[36:37], s[6:7], -v[94:95]
	v_fma_f64 v[76:77], v[40:41], s[26:27], v[136:137]
	v_fma_f64 v[118:119], v[40:41], s[26:27], -v[136:137]
	v_fma_f64 v[68:69], v[40:41], s[10:11], -v[78:79]
	v_mad_u64_u32 v[0:1], null, s3, v146, v[0:1]
	v_fma_f64 v[78:79], v[40:41], s[10:11], v[78:79]
	v_add_f64 v[1:2], v[14:15], v[2:3]
	v_fma_f64 v[14:15], v[36:37], s[6:7], v[94:95]
	s_clause 0x1
	buffer_load_dword v36, off, s[56:59], 0
	buffer_load_dword v37, off, s[56:59], 0 offset:4
	v_fma_f64 v[169:170], v[40:41], s[34:35], v[181:182]
	v_add_nc_u32_e32 v3, 0x68, v146
	v_mov_b32_e32 v83, v0
	v_fma_f64 v[195:196], v[40:41], s[34:35], -v[181:182]
	v_add_f64 v[92:93], v[52:53], v[92:93]
	v_add_f64 v[32:33], v[124:125], v[165:166]
	v_add_f64 v[60:61], v[112:113], v[114:115]
	v_add_f64 v[62:63], v[106:107], v[64:65]
	v_add_f64 v[76:77], v[76:77], v[84:85]
	v_add_f64 v[104:105], v[118:119], v[58:59]
	v_add_f64 v[12:13], v[68:69], v[12:13]
	v_fma_f64 v[84:85], v[38:39], s[6:7], v[90:91]
	v_add_f64 v[72:73], v[78:79], v[72:73]
	v_add_co_u32 v79, vcc_lo, s12, v44
	v_add_f64 v[100:101], v[169:170], v[140:141]
	v_add_f64 v[128:129], v[195:196], v[128:129]
	;; [unrolled: 1-line block ×4, first 2 shown]
	v_add_nc_u32_e32 v74, 52, v146
	v_add_f64 v[68:69], v[110:111], v[12:13]
	v_fma_f64 v[12:13], v[38:39], s[6:7], -v[90:91]
	v_add_f64 v[38:39], v[66:67], v[46:47]
	v_mad_u64_u32 v[66:67], null, s2, v3, 0
	v_mad_u64_u32 v[64:65], null, s2, v74, 0
	v_add_f64 v[40:41], v[98:99], v[100:101]
	v_add_f64 v[56:57], v[86:87], v[104:105]
	;; [unrolled: 1-line block ×4, first 2 shown]
	v_mov_b32_e32 v0, v65
	v_mad_u64_u32 v[46:47], null, s3, v74, v[0:1]
	v_mov_b32_e32 v0, v67
	v_mad_u64_u32 v[76:77], null, s3, v3, v[0:1]
	v_mov_b32_e32 v65, v46
	v_add_f64 v[46:47], v[12:13], v[1:2]
	v_lshlrev_b64 v[0:1], 4, v[64:65]
	v_mov_b32_e32 v67, v76
	v_add_nc_u32_e32 v64, 0x104, v146
	v_add_nc_u32_e32 v65, 0x138, v146
	s_waitcnt vmcnt(0)
	v_add_f64 v[36:37], v[36:37], v[80:81]
	v_add_co_ci_u32_e32 v80, vcc_lo, s13, v45, vcc_lo
	v_lshlrev_b64 v[44:45], 4, v[82:83]
	v_add_nc_u32_e32 v81, 0x9c, v146
	v_add_co_u32 v74, vcc_lo, v79, v44
	v_add_co_ci_u32_e32 v75, vcc_lo, v80, v45, vcc_lo
	v_mad_u64_u32 v[77:78], null, s2, v81, 0
	v_add_f64 v[44:45], v[14:15], v[72:73]
	v_lshlrev_b64 v[14:15], 4, v[66:67]
	v_add_co_u32 v0, vcc_lo, v79, v0
	v_add_co_ci_u32_e32 v1, vcc_lo, v80, v1, vcc_lo
	v_mov_b32_e32 v2, v78
	global_store_dwordx4 v[74:75], v[36:39], off
	v_add_nc_u32_e32 v38, 0xd0, v146
	v_mad_u64_u32 v[36:37], null, s2, v64, 0
	v_mad_u64_u32 v[2:3], null, s3, v81, v[2:3]
	;; [unrolled: 1-line block ×3, first 2 shown]
	v_mov_b32_e32 v78, v2
	v_mov_b32_e32 v3, v13
	v_add_co_u32 v13, vcc_lo, v79, v14
	v_add_co_ci_u32_e32 v14, vcc_lo, v80, v15, vcc_lo
	v_mad_u64_u32 v[2:3], null, s3, v38, v[3:4]
	v_mad_u64_u32 v[38:39], null, s2, v65, 0
	v_mov_b32_e32 v3, v37
	global_store_dwordx4 v[0:1], v[44:47], off
	global_store_dwordx4 v[13:14], v[60:63], off
	v_lshlrev_b64 v[0:1], 4, v[77:78]
	v_mov_b32_e32 v13, v2
	v_mad_u64_u32 v[14:15], null, s3, v64, v[3:4]
	v_mov_b32_e32 v2, v39
	v_add_co_u32 v0, vcc_lo, v79, v0
	v_add_co_ci_u32_e32 v1, vcc_lo, v80, v1, vcc_lo
	v_mad_u64_u32 v[2:3], null, s3, v65, v[2:3]
	v_add_nc_u32_e32 v3, 0x16c, v146
	v_mov_b32_e32 v37, v14
	v_lshlrev_b64 v[12:13], 4, v[12:13]
	global_store_dwordx4 v[0:1], v[40:43], off
	v_add_nc_u32_e32 v40, 0x1a0, v146
	v_mad_u64_u32 v[14:15], null, s2, v3, 0
	v_lshlrev_b64 v[0:1], 4, v[36:37]
	v_add_co_u32 v12, vcc_lo, v79, v12
	v_mov_b32_e32 v39, v2
	v_mad_u64_u32 v[36:37], null, s2, v40, 0
	v_mov_b32_e32 v2, v15
	v_add_co_ci_u32_e32 v13, vcc_lo, v80, v13, vcc_lo
	v_add_nc_u32_e32 v42, 0x1d4, v146
	v_add_co_u32 v0, vcc_lo, v79, v0
	v_mad_u64_u32 v[2:3], null, s3, v3, v[2:3]
	global_store_dwordx4 v[12:13], v[48:51], off
	v_lshlrev_b64 v[12:13], 4, v[38:39]
	v_mad_u64_u32 v[38:39], null, s2, v42, 0
	v_mov_b32_e32 v3, v37
	v_add_nc_u32_e32 v43, 0x208, v146
	v_add_co_ci_u32_e32 v1, vcc_lo, v80, v1, vcc_lo
	v_mov_b32_e32 v15, v2
	v_mad_u64_u32 v[40:41], null, s3, v40, v[3:4]
	v_mad_u64_u32 v[2:3], null, s2, v43, 0
	v_add_co_u32 v12, vcc_lo, v79, v12
	global_store_dwordx4 v[0:1], v[28:31], off
	v_mov_b32_e32 v0, v39
	v_add_co_ci_u32_e32 v13, vcc_lo, v80, v13, vcc_lo
	v_mov_b32_e32 v37, v40
	v_mad_u64_u32 v[0:1], null, s3, v42, v[0:1]
	v_mov_b32_e32 v1, v3
	global_store_dwordx4 v[12:13], v[24:27], off
	v_lshlrev_b64 v[12:13], 4, v[14:15]
	v_add_nc_u32_e32 v27, 0x23c, v146
	v_lshlrev_b64 v[14:15], 4, v[36:37]
	v_mad_u64_u32 v[24:25], null, s3, v43, v[1:2]
	v_mov_b32_e32 v39, v0
	v_add_co_u32 v12, vcc_lo, v79, v12
	v_mad_u64_u32 v[25:26], null, s2, v27, 0
	v_add_co_ci_u32_e32 v13, vcc_lo, v80, v13, vcc_lo
	v_add_co_u32 v0, vcc_lo, v79, v14
	v_add_co_ci_u32_e32 v1, vcc_lo, v80, v15, vcc_lo
	v_mov_b32_e32 v3, v24
	global_store_dwordx4 v[12:13], v[20:23], off
	v_lshlrev_b64 v[13:14], 4, v[38:39]
	v_mov_b32_e32 v12, v26
	global_store_dwordx4 v[0:1], v[16:19], off
	v_lshlrev_b64 v[0:1], 4, v[2:3]
	v_add_nc_u32_e32 v16, 0x2d8, v146
	v_add_nc_u32_e32 v15, 0x2a4, v146
	v_mad_u64_u32 v[2:3], null, s3, v27, v[12:13]
	v_add_co_u32 v12, vcc_lo, v79, v13
	v_add_co_ci_u32_e32 v13, vcc_lo, v80, v14, vcc_lo
	v_add_nc_u32_e32 v14, 0x270, v146
	v_add_co_u32 v0, vcc_lo, v79, v0
	v_add_co_ci_u32_e32 v1, vcc_lo, v80, v1, vcc_lo
	v_mov_b32_e32 v26, v2
	v_mad_u64_u32 v[2:3], null, s2, v14, 0
	global_store_dwordx4 v[12:13], v[183:186], off
	global_store_dwordx4 v[0:1], v[8:11], off
	v_mad_u64_u32 v[10:11], null, s2, v16, 0
	v_mad_u64_u32 v[8:9], null, s2, v15, 0
	v_lshlrev_b64 v[0:1], 4, v[25:26]
	v_mad_u64_u32 v[12:13], null, s3, v14, v[3:4]
	v_add_nc_u32_e32 v19, 0x30c, v146
	v_mov_b32_e32 v3, v11
	v_or_b32_e32 v20, 0x340, v146
	v_mad_u64_u32 v[13:14], null, s3, v15, v[9:10]
	v_add_co_u32 v0, vcc_lo, v79, v0
	v_mad_u64_u32 v[14:15], null, s2, v19, 0
	v_add_co_ci_u32_e32 v1, vcc_lo, v80, v1, vcc_lo
	v_mad_u64_u32 v[16:17], null, s3, v16, v[3:4]
	v_mov_b32_e32 v3, v12
	v_mad_u64_u32 v[17:18], null, s2, v20, 0
	global_store_dwordx4 v[0:1], v[4:7], off
	v_mov_b32_e32 v0, v15
	v_lshlrev_b64 v[1:2], 4, v[2:3]
	v_mov_b32_e32 v9, v13
	v_mov_b32_e32 v11, v16
	v_mad_u64_u32 v[3:4], null, s3, v19, v[0:1]
	v_mov_b32_e32 v0, v18
	v_add_co_u32 v1, vcc_lo, v79, v1
	v_lshlrev_b64 v[4:5], 4, v[8:9]
	v_add_co_ci_u32_e32 v2, vcc_lo, v80, v2, vcc_lo
	v_mad_u64_u32 v[6:7], null, s3, v20, v[0:1]
	v_lshlrev_b64 v[7:8], 4, v[10:11]
	v_mov_b32_e32 v15, v3
	v_add_co_u32 v3, vcc_lo, v79, v4
	v_add_co_ci_u32_e32 v4, vcc_lo, v80, v5, vcc_lo
	v_mov_b32_e32 v18, v6
	v_lshlrev_b64 v[9:10], 4, v[14:15]
	v_add_co_u32 v5, vcc_lo, v79, v7
	v_add_co_ci_u32_e32 v6, vcc_lo, v80, v8, vcc_lo
	v_lshlrev_b64 v[7:8], 4, v[17:18]
	v_add_co_u32 v9, vcc_lo, v79, v9
	v_add_co_ci_u32_e32 v10, vcc_lo, v80, v10, vcc_lo
	v_add_co_u32 v7, vcc_lo, v79, v7
	v_add_co_ci_u32_e32 v8, vcc_lo, v80, v8, vcc_lo
	global_store_dwordx4 v[1:2], v[147:150], off
	global_store_dwordx4 v[3:4], v[32:35], off
	;; [unrolled: 1-line block ×5, first 2 shown]
	s_endpgm
	.section	.rodata,"a",@progbits
	.p2align	6, 0x0
	.amdhsa_kernel fft_rtc_back_len884_factors_13_4_17_wgs_204_tpt_68_halfLds_dp_ip_CI_sbrr_dirReg
		.amdhsa_group_segment_fixed_size 0
		.amdhsa_private_segment_fixed_size 12
		.amdhsa_kernarg_size 88
		.amdhsa_user_sgpr_count 6
		.amdhsa_user_sgpr_private_segment_buffer 1
		.amdhsa_user_sgpr_dispatch_ptr 0
		.amdhsa_user_sgpr_queue_ptr 0
		.amdhsa_user_sgpr_kernarg_segment_ptr 1
		.amdhsa_user_sgpr_dispatch_id 0
		.amdhsa_user_sgpr_flat_scratch_init 0
		.amdhsa_user_sgpr_private_segment_size 0
		.amdhsa_wavefront_size32 1
		.amdhsa_uses_dynamic_stack 0
		.amdhsa_system_sgpr_private_segment_wavefront_offset 1
		.amdhsa_system_sgpr_workgroup_id_x 1
		.amdhsa_system_sgpr_workgroup_id_y 0
		.amdhsa_system_sgpr_workgroup_id_z 0
		.amdhsa_system_sgpr_workgroup_info 0
		.amdhsa_system_vgpr_workitem_id 0
		.amdhsa_next_free_vgpr 255
		.amdhsa_next_free_sgpr 60
		.amdhsa_reserve_vcc 1
		.amdhsa_reserve_flat_scratch 0
		.amdhsa_float_round_mode_32 0
		.amdhsa_float_round_mode_16_64 0
		.amdhsa_float_denorm_mode_32 3
		.amdhsa_float_denorm_mode_16_64 3
		.amdhsa_dx10_clamp 1
		.amdhsa_ieee_mode 1
		.amdhsa_fp16_overflow 0
		.amdhsa_workgroup_processor_mode 1
		.amdhsa_memory_ordered 1
		.amdhsa_forward_progress 0
		.amdhsa_shared_vgpr_count 0
		.amdhsa_exception_fp_ieee_invalid_op 0
		.amdhsa_exception_fp_denorm_src 0
		.amdhsa_exception_fp_ieee_div_zero 0
		.amdhsa_exception_fp_ieee_overflow 0
		.amdhsa_exception_fp_ieee_underflow 0
		.amdhsa_exception_fp_ieee_inexact 0
		.amdhsa_exception_int_div_zero 0
	.end_amdhsa_kernel
	.text
.Lfunc_end0:
	.size	fft_rtc_back_len884_factors_13_4_17_wgs_204_tpt_68_halfLds_dp_ip_CI_sbrr_dirReg, .Lfunc_end0-fft_rtc_back_len884_factors_13_4_17_wgs_204_tpt_68_halfLds_dp_ip_CI_sbrr_dirReg
                                        ; -- End function
	.section	.AMDGPU.csdata,"",@progbits
; Kernel info:
; codeLenInByte = 15840
; NumSgprs: 62
; NumVgprs: 255
; ScratchSize: 12
; MemoryBound: 1
; FloatMode: 240
; IeeeMode: 1
; LDSByteSize: 0 bytes/workgroup (compile time only)
; SGPRBlocks: 7
; VGPRBlocks: 31
; NumSGPRsForWavesPerEU: 62
; NumVGPRsForWavesPerEU: 255
; Occupancy: 4
; WaveLimiterHint : 1
; COMPUTE_PGM_RSRC2:SCRATCH_EN: 1
; COMPUTE_PGM_RSRC2:USER_SGPR: 6
; COMPUTE_PGM_RSRC2:TRAP_HANDLER: 0
; COMPUTE_PGM_RSRC2:TGID_X_EN: 1
; COMPUTE_PGM_RSRC2:TGID_Y_EN: 0
; COMPUTE_PGM_RSRC2:TGID_Z_EN: 0
; COMPUTE_PGM_RSRC2:TIDIG_COMP_CNT: 0
	.text
	.p2alignl 6, 3214868480
	.fill 48, 4, 3214868480
	.type	__hip_cuid_bcdf2369623cb72f,@object ; @__hip_cuid_bcdf2369623cb72f
	.section	.bss,"aw",@nobits
	.globl	__hip_cuid_bcdf2369623cb72f
__hip_cuid_bcdf2369623cb72f:
	.byte	0                               ; 0x0
	.size	__hip_cuid_bcdf2369623cb72f, 1

	.ident	"AMD clang version 19.0.0git (https://github.com/RadeonOpenCompute/llvm-project roc-6.4.0 25133 c7fe45cf4b819c5991fe208aaa96edf142730f1d)"
	.section	".note.GNU-stack","",@progbits
	.addrsig
	.addrsig_sym __hip_cuid_bcdf2369623cb72f
	.amdgpu_metadata
---
amdhsa.kernels:
  - .args:
      - .actual_access:  read_only
        .address_space:  global
        .offset:         0
        .size:           8
        .value_kind:     global_buffer
      - .offset:         8
        .size:           8
        .value_kind:     by_value
      - .actual_access:  read_only
        .address_space:  global
        .offset:         16
        .size:           8
        .value_kind:     global_buffer
      - .actual_access:  read_only
        .address_space:  global
        .offset:         24
        .size:           8
        .value_kind:     global_buffer
      - .offset:         32
        .size:           8
        .value_kind:     by_value
      - .actual_access:  read_only
        .address_space:  global
        .offset:         40
        .size:           8
        .value_kind:     global_buffer
      - .actual_access:  read_only
        .address_space:  global
        .offset:         48
        .size:           8
        .value_kind:     global_buffer
      - .offset:         56
        .size:           4
        .value_kind:     by_value
      - .actual_access:  read_only
        .address_space:  global
        .offset:         64
        .size:           8
        .value_kind:     global_buffer
      - .actual_access:  read_only
        .address_space:  global
        .offset:         72
        .size:           8
        .value_kind:     global_buffer
      - .address_space:  global
        .offset:         80
        .size:           8
        .value_kind:     global_buffer
    .group_segment_fixed_size: 0
    .kernarg_segment_align: 8
    .kernarg_segment_size: 88
    .language:       OpenCL C
    .language_version:
      - 2
      - 0
    .max_flat_workgroup_size: 204
    .name:           fft_rtc_back_len884_factors_13_4_17_wgs_204_tpt_68_halfLds_dp_ip_CI_sbrr_dirReg
    .private_segment_fixed_size: 12
    .sgpr_count:     62
    .sgpr_spill_count: 0
    .symbol:         fft_rtc_back_len884_factors_13_4_17_wgs_204_tpt_68_halfLds_dp_ip_CI_sbrr_dirReg.kd
    .uniform_work_group_size: 1
    .uses_dynamic_stack: false
    .vgpr_count:     255
    .vgpr_spill_count: 2
    .wavefront_size: 32
    .workgroup_processor_mode: 1
amdhsa.target:   amdgcn-amd-amdhsa--gfx1030
amdhsa.version:
  - 1
  - 2
...

	.end_amdgpu_metadata
